;; amdgpu-corpus repo=ROCm/rocFFT kind=compiled arch=gfx1201 opt=O3
	.text
	.amdgcn_target "amdgcn-amd-amdhsa--gfx1201"
	.amdhsa_code_object_version 6
	.protected	fft_rtc_fwd_len17_factors_17_wgs_120_tpt_1_half_op_CI_CI_sbrc_erc_z_xy_unaligned ; -- Begin function fft_rtc_fwd_len17_factors_17_wgs_120_tpt_1_half_op_CI_CI_sbrc_erc_z_xy_unaligned
	.globl	fft_rtc_fwd_len17_factors_17_wgs_120_tpt_1_half_op_CI_CI_sbrc_erc_z_xy_unaligned
	.p2align	8
	.type	fft_rtc_fwd_len17_factors_17_wgs_120_tpt_1_half_op_CI_CI_sbrc_erc_z_xy_unaligned,@function
fft_rtc_fwd_len17_factors_17_wgs_120_tpt_1_half_op_CI_CI_sbrc_erc_z_xy_unaligned: ; @fft_rtc_fwd_len17_factors_17_wgs_120_tpt_1_half_op_CI_CI_sbrc_erc_z_xy_unaligned
; %bb.0:
	s_load_b256 s[4:11], s[0:1], 0x8
	s_wait_kmcnt 0x0
	s_load_b128 s[12:15], s[6:7], 0x8
	s_load_b32 s26, s[8:9], 0x10
	s_wait_kmcnt 0x0
	s_add_co_i32 s2, s12, -1
	s_delay_alu instid0(SALU_CYCLE_1) | instskip(NEXT) | instid1(SALU_CYCLE_1)
	s_mul_hi_u32 s2, s2, 0x88888889
	s_lshr_b32 s2, s2, 6
	s_delay_alu instid0(SALU_CYCLE_1) | instskip(NEXT) | instid1(SALU_CYCLE_1)
	s_add_co_i32 s3, s2, 1
	s_mul_i32 s6, s3, s14
	s_cvt_f32_u32 s13, s3
	s_cvt_f32_u32 s7, s6
	s_sub_co_i32 s14, 0, s6
	s_delay_alu instid0(SALU_CYCLE_2) | instskip(NEXT) | instid1(TRANS32_DEP_1)
	v_rcp_iflag_f32_e32 v1, s7
	v_readfirstlane_b32 s7, v1
	v_rcp_iflag_f32_e32 v1, s13
	s_delay_alu instid0(VALU_DEP_1) | instskip(SKIP_1) | instid1(SALU_CYCLE_2)
	s_mul_f32 s7, s7, 0x4f7ffffe
	s_wait_alu 0xfffe
	s_cvt_u32_f32 s7, s7
	s_wait_alu 0xfffe
	s_delay_alu instid0(SALU_CYCLE_2) | instskip(NEXT) | instid1(SALU_CYCLE_1)
	s_mul_i32 s14, s14, s7
	s_mul_hi_u32 s13, s7, s14
	s_delay_alu instid0(TRANS32_DEP_1)
	v_readfirstlane_b32 s14, v1
	s_wait_alu 0xfffe
	s_add_co_i32 s7, s7, s13
	s_wait_alu 0xfffe
	s_mul_hi_u32 s7, ttmp9, s7
	s_mul_f32 s14, s14, 0x4f7ffffe
	s_wait_alu 0xfffe
	s_mul_i32 s13, s7, s6
	s_add_co_i32 s15, s7, 1
	s_wait_alu 0xfffe
	s_sub_co_i32 s13, ttmp9, s13
	s_wait_alu 0xfffe
	s_sub_co_i32 s16, s13, s6
	s_cmp_ge_u32 s13, s6
	s_cselect_b32 s7, s15, s7
	s_cselect_b32 s13, s16, s13
	s_load_b128 s[16:19], s[8:9], 0x0
	s_add_co_i32 s15, s7, 1
	s_cmp_ge_u32 s13, s6
	s_cvt_u32_f32 s13, s14
	s_cselect_b32 s14, s15, s7
	s_not_b32 s2, s2
	s_mul_i32 s6, s14, s6
	s_wait_alu 0xfffe
	s_mul_i32 s2, s2, s13
	s_sub_co_i32 s6, ttmp9, s6
	s_mul_hi_u32 s2, s13, s2
	s_delay_alu instid0(SALU_CYCLE_1)
	s_add_co_i32 s13, s13, s2
	s_wait_alu 0xfffe
	s_mul_hi_u32 s2, s6, s13
	s_mul_hi_u32 s13, ttmp9, s13
	s_mul_i32 s7, s2, s3
	s_wait_alu 0xfffe
	s_sub_co_i32 s6, s6, s7
	s_add_co_i32 s7, s2, 1
	s_wait_alu 0xfffe
	s_sub_co_i32 s15, s6, s3
	s_cmp_ge_u32 s6, s3
	s_cselect_b32 s2, s7, s2
	s_cselect_b32 s6, s15, s6
	s_add_co_i32 s7, s2, 1
	s_wait_alu 0xfffe
	s_cmp_ge_u32 s6, s3
	s_mul_i32 s6, s13, s3
	s_cselect_b32 s13, s7, s2
	s_wait_alu 0xfffe
	s_sub_co_i32 s2, ttmp9, s6
	s_mov_b32 s15, 0
	s_sub_co_i32 s6, s2, s3
	s_cmp_ge_u32 s2, s3
	s_mov_b32 s27, s15
	s_wait_alu 0xfffe
	s_cselect_b32 s2, s6, s2
	s_delay_alu instid0(SALU_CYCLE_1)
	s_sub_co_i32 s6, s2, s3
	s_cmp_ge_u32 s2, s3
	s_wait_kmcnt 0x0
	s_wait_alu 0xfffe
	s_cselect_b32 s19, s6, s2
	s_lshl_b64 s[22:23], s[4:5], 3
	s_delay_alu instid0(SALU_CYCLE_1)
	s_add_nc_u64 s[2:3], s[8:9], s[22:23]
	s_load_b64 s[24:25], s[2:3], 0x0
	s_load_b64 s[20:21], s[0:1], 0x58
	s_clause 0x1
	s_load_b128 s[4:7], s[10:11], 0x0
	s_load_b64 s[2:3], s[10:11], 0x10
	s_mul_i32 s8, s19, 0x78
	s_wait_kmcnt 0x0
	s_mul_i32 s3, s13, s26
	s_mul_i32 s9, s8, s18
	s_add_co_i32 s19, s8, 0x78
	s_add_co_i32 s26, s9, s3
	s_cmp_le_u32 s19, s12
	s_add_nc_u64 s[22:23], s[10:11], s[22:23]
	s_cselect_b32 s3, -1, 0
	s_mov_b32 s7, -1
	s_and_b32 vcc_lo, exec_lo, s3
	s_mul_u64 s[10:11], s[24:25], s[14:15]
	s_delay_alu instid0(SALU_CYCLE_1)
	s_add_nc_u64 s[10:11], s[10:11], s[26:27]
	s_cbranch_vccz .LBB0_2
; %bb.1:
	v_mul_u32_u24_e32 v1, 0xf10, v0
	v_add_nc_u16 v7, v0, 0x78
	v_add_nc_u16 v8, v0, 0xf0
	;; [unrolled: 1-line block ×4, first 2 shown]
	v_lshrrev_b32_e32 v3, 16, v1
	v_and_b32_e32 v1, 0xffff, v7
	v_and_b32_e32 v2, 0xffff, v8
	;; [unrolled: 1-line block ×4, first 2 shown]
	v_mul_lo_u16 v4, v3, 17
	s_lshl_b64 s[24:25], s[10:11], 2
	v_mul_u32_u24_e32 v6, 0xf10, v2
	v_mov_b32_e32 v2, 0
	v_mul_u32_u24_e32 v1, 0xf10, v1
	v_sub_nc_u16 v9, v0, v4
	v_mul_u32_u24_e32 v18, 0xf10, v12
	v_lshrrev_b32_e32 v4, 16, v6
	s_add_nc_u64 s[24:25], s[20:21], s[24:25]
	v_lshrrev_b32_e32 v5, 16, v1
	v_and_b32_e32 v6, 0xffff, v9
	v_mul_u32_u24_e32 v24, 0xf10, v22
	v_mul_lo_u16 v9, v4, 17
	v_add_nc_u16 v26, v0, 0x258
	v_mul_lo_u16 v1, v5, 17
	v_mad_co_u64_u32 v[10:11], null, s16, v6, 0
	s_delay_alu instid0(VALU_DEP_4) | instskip(SKIP_1) | instid1(VALU_DEP_4)
	v_sub_nc_u16 v8, v8, v9
	v_add_nc_u16 v29, v0, 0x2d0
	v_sub_nc_u16 v7, v7, v1
	v_mul_lo_u32 v1, s18, v3
	v_add_nc_u16 v34, v0, 0x3c0
	v_add_nc_u16 v44, v0, 0x438
	;; [unrolled: 1-line block ×3, first 2 shown]
	v_and_b32_e32 v9, 0xffff, v7
	v_dual_mov_b32 v8, v11 :: v_dual_and_b32 v7, 0xffff, v8
	s_delay_alu instid0(VALU_DEP_4) | instskip(SKIP_1) | instid1(VALU_DEP_4)
	v_and_b32_e32 v35, 0xffff, v44
	v_add_nc_u16 v52, v0, 0x618
	v_mad_co_u64_u32 v[12:13], null, s16, v9, 0
	s_delay_alu instid0(VALU_DEP_4)
	v_mad_co_u64_u32 v[14:15], null, s16, v7, 0
	v_mad_co_u64_u32 v[16:17], null, s17, v6, v[8:9]
	v_lshrrev_b32_e32 v8, 16, v18
	v_lshlrev_b64_e32 v[17:18], 2, v[1:2]
	v_mul_lo_u32 v1, s18, v5
	v_add_nc_u16 v54, v0, 0x708
	v_mad_co_u64_u32 v[19:20], null, s17, v9, v[13:14]
	v_mul_lo_u16 v23, v8, 17
	v_mov_b32_e32 v11, v16
	v_mad_co_u64_u32 v[15:16], null, s17, v7, v[15:16]
	v_or_b32_e32 v57, 0x780, v0
	s_delay_alu instid0(VALU_DEP_4) | instskip(NEXT) | instid1(VALU_DEP_4)
	v_sub_nc_u16 v13, v21, v23
	v_lshlrev_b64_e32 v[20:21], 2, v[10:11]
	v_lshlrev_b64_e32 v[22:23], 2, v[1:2]
	v_mul_u32_u24_e32 v5, 0x48, v5
	v_and_b32_e32 v60, 0xffff, v57
	v_dual_mov_b32 v13, v19 :: v_dual_and_b32 v10, 0xffff, v13
	v_add_co_u32 v1, vcc_lo, s24, v20
	v_add_co_ci_u32_e32 v19, vcc_lo, s25, v21, vcc_lo
	s_delay_alu instid0(VALU_DEP_3) | instskip(NEXT) | instid1(VALU_DEP_3)
	v_lshlrev_b64_e32 v[11:12], 2, v[12:13]
	v_add_co_u32 v16, vcc_lo, v1, v17
	s_wait_alu 0xfffd
	s_delay_alu instid0(VALU_DEP_3) | instskip(SKIP_1) | instid1(VALU_DEP_4)
	v_add_co_ci_u32_e32 v17, vcc_lo, v19, v18, vcc_lo
	v_mad_co_u64_u32 v[18:19], null, s16, v10, 0
	v_add_co_u32 v13, vcc_lo, s24, v11
	s_wait_alu 0xfffd
	v_add_co_ci_u32_e32 v12, vcc_lo, s25, v12, vcc_lo
	v_lshrrev_b32_e32 v11, 16, v24
	v_mul_lo_u32 v1, s18, v4
	v_add_co_u32 v20, vcc_lo, v13, v22
	v_lshlrev_b64_e32 v[13:14], 2, v[14:15]
	s_wait_alu 0xfffd
	v_add_co_ci_u32_e32 v21, vcc_lo, v12, v23, vcc_lo
	v_mov_b32_e32 v12, v19
	v_mul_lo_u16 v15, v11, 17
	v_and_b32_e32 v19, 0xffff, v26
	v_mul_u32_u24_e32 v4, 0x48, v4
	s_mov_b32 s7, s15
	v_mad_co_u64_u32 v[22:23], null, s17, v10, v[12:13]
	v_lshlrev_b64_e32 v[23:24], 2, v[1:2]
	v_sub_nc_u16 v1, v25, v15
	v_mul_u32_u24_e32 v15, 0xf10, v19
	v_add_co_u32 v25, vcc_lo, s24, v13
	s_wait_alu 0xfffd
	v_add_co_ci_u32_e32 v27, vcc_lo, s25, v14, vcc_lo
	s_delay_alu instid0(VALU_DEP_3)
	v_lshrrev_b32_e32 v13, 16, v15
	v_and_b32_e32 v12, 0xffff, v1
	v_add_co_u32 v14, vcc_lo, v25, v23
	v_mov_b32_e32 v19, v22
	s_wait_alu 0xfffd
	v_add_co_ci_u32_e32 v15, vcc_lo, v27, v24, vcc_lo
	v_mul_lo_u16 v24, v13, 17
	v_mad_co_u64_u32 v[22:23], null, s16, v12, 0
	v_lshlrev_b64_e32 v[18:19], 2, v[18:19]
	v_mul_lo_u32 v1, s18, v8
	s_delay_alu instid0(VALU_DEP_4) | instskip(NEXT) | instid1(VALU_DEP_3)
	v_sub_nc_u16 v25, v26, v24
	v_add_co_u32 v27, vcc_lo, s24, v18
	s_delay_alu instid0(VALU_DEP_2) | instskip(SKIP_3) | instid1(VALU_DEP_3)
	v_dual_mov_b32 v18, v23 :: v_dual_and_b32 v37, 0xffff, v25
	s_wait_alu 0xfffd
	v_add_co_ci_u32_e32 v28, vcc_lo, s25, v19, vcc_lo
	v_lshlrev_b64_e32 v[23:24], 2, v[1:2]
	v_mad_co_u64_u32 v[18:19], null, s17, v12, v[18:19]
	v_mad_co_u64_u32 v[25:26], null, s16, v37, 0
	s_delay_alu instid0(VALU_DEP_3) | instskip(SKIP_1) | instid1(VALU_DEP_4)
	v_add_co_u32 v27, vcc_lo, v27, v23
	s_wait_alu 0xfffd
	v_add_co_ci_u32_e32 v28, vcc_lo, v28, v24, vcc_lo
	s_delay_alu instid0(VALU_DEP_3) | instskip(SKIP_1) | instid1(VALU_DEP_2)
	v_dual_mov_b32 v23, v18 :: v_dual_mov_b32 v18, v26
	v_add_nc_u16 v24, v0, 0x348
	v_lshlrev_b64_e32 v[22:23], 2, v[22:23]
	s_delay_alu instid0(VALU_DEP_3) | instskip(SKIP_1) | instid1(VALU_DEP_4)
	v_mad_co_u64_u32 v[18:19], null, s17, v37, v[18:19]
	v_and_b32_e32 v1, 0xffff, v29
	v_and_b32_e32 v30, 0xffff, v24
	s_delay_alu instid0(VALU_DEP_2) | instskip(NEXT) | instid1(VALU_DEP_1)
	v_mul_u32_u24_e32 v1, 0xf10, v1
	v_lshrrev_b32_e32 v38, 16, v1
	v_mul_lo_u32 v1, s18, v11
	s_delay_alu instid0(VALU_DEP_2) | instskip(NEXT) | instid1(VALU_DEP_1)
	v_mul_lo_u16 v26, v38, 17
	v_sub_nc_u16 v19, v29, v26
	v_mul_u32_u24_e32 v26, 0xf10, v30
	v_add_co_u32 v29, vcc_lo, s24, v22
	s_wait_alu 0xfffd
	v_add_co_ci_u32_e32 v30, vcc_lo, s25, v23, vcc_lo
	s_delay_alu instid0(VALU_DEP_3) | instskip(SKIP_3) | instid1(VALU_DEP_4)
	v_lshrrev_b32_e32 v40, 16, v26
	v_lshlrev_b64_e32 v[22:23], 2, v[1:2]
	v_mul_lo_u32 v1, s18, v13
	v_dual_mov_b32 v26, v18 :: v_dual_and_b32 v39, 0xffff, v19
	v_mul_lo_u16 v31, v40, 17
	s_delay_alu instid0(VALU_DEP_4) | instskip(NEXT) | instid1(VALU_DEP_3)
	v_add_co_u32 v22, vcc_lo, v29, v22
	v_mad_co_u64_u32 v[18:19], null, s16, v39, 0
	s_delay_alu instid0(VALU_DEP_3)
	v_sub_nc_u16 v31, v24, v31
	s_wait_alu 0xfffd
	v_add_co_ci_u32_e32 v23, vcc_lo, v30, v23, vcc_lo
	v_lshlrev_b64_e32 v[29:30], 2, v[1:2]
	v_and_b32_e32 v1, 0xffff, v34
	v_and_b32_e32 v41, 0xffff, v31
	v_mad_co_u64_u32 v[31:32], null, s17, v39, v[19:20]
	v_lshlrev_b64_e32 v[24:25], 2, v[25:26]
	s_delay_alu instid0(VALU_DEP_4) | instskip(NEXT) | instid1(VALU_DEP_4)
	v_mul_u32_u24_e32 v1, 0xf10, v1
	v_mad_co_u64_u32 v[32:33], null, s16, v41, 0
	s_delay_alu instid0(VALU_DEP_2) | instskip(NEXT) | instid1(VALU_DEP_4)
	v_lshrrev_b32_e32 v42, 16, v1
	v_add_co_u32 v24, vcc_lo, s24, v24
	s_wait_alu 0xfffd
	v_add_co_ci_u32_e32 v25, vcc_lo, s25, v25, vcc_lo
	s_delay_alu instid0(VALU_DEP_4)
	v_dual_mov_b32 v19, v31 :: v_dual_mov_b32 v26, v33
	v_mul_lo_u16 v31, v42, 17
	v_add_co_u32 v24, vcc_lo, v24, v29
	s_wait_alu 0xfffd
	v_add_co_ci_u32_e32 v25, vcc_lo, v25, v30, vcc_lo
	v_mad_co_u64_u32 v[29:30], null, s17, v41, v[26:27]
	v_sub_nc_u16 v26, v34, v31
	v_lshlrev_b64_e32 v[18:19], 2, v[18:19]
	v_mul_lo_u32 v1, s18, v38
	s_delay_alu instid0(VALU_DEP_3) | instskip(SKIP_1) | instid1(VALU_DEP_4)
	v_and_b32_e32 v43, 0xffff, v26
	v_mov_b32_e32 v33, v29
	v_add_co_u32 v31, vcc_lo, s24, v18
	s_wait_alu 0xfffd
	v_add_co_ci_u32_e32 v34, vcc_lo, s25, v19, vcc_lo
	v_mad_co_u64_u32 v[29:30], null, s16, v43, 0
	v_lshlrev_b64_e32 v[18:19], 2, v[1:2]
	v_mul_lo_u32 v1, s18, v40
	s_delay_alu instid0(VALU_DEP_3) | instskip(SKIP_1) | instid1(VALU_DEP_4)
	v_mov_b32_e32 v26, v30
	v_mul_u32_u24_e32 v30, 0xf10, v35
	v_add_co_u32 v18, vcc_lo, v31, v18
	v_lshlrev_b64_e32 v[31:32], 2, v[32:33]
	s_delay_alu instid0(VALU_DEP_4) | instskip(NEXT) | instid1(VALU_DEP_4)
	v_mad_co_u64_u32 v[35:36], null, s17, v43, v[26:27]
	v_lshrrev_b32_e32 v36, 16, v30
	s_wait_alu 0xfffd
	v_add_co_ci_u32_e32 v19, vcc_lo, v34, v19, vcc_lo
	v_lshlrev_b64_e32 v[33:34], 2, v[1:2]
	v_add_co_u32 v26, vcc_lo, s24, v31
	v_mul_lo_u16 v46, v36, 17
	v_and_b32_e32 v1, 0xffff, v45
	s_wait_alu 0xfffd
	v_add_co_ci_u32_e32 v30, vcc_lo, s25, v32, vcc_lo
	v_add_co_u32 v31, vcc_lo, v26, v33
	v_sub_nc_u16 v26, v44, v46
	v_mul_u32_u24_e32 v1, 0xf10, v1
	s_wait_alu 0xfffd
	v_add_co_ci_u32_e32 v32, vcc_lo, v30, v34, vcc_lo
	v_mov_b32_e32 v30, v35
	s_clause 0x7
	global_load_b32 v34, v[16:17], off
	global_load_b32 v35, v[20:21], off
	;; [unrolled: 1-line block ×8, first 2 shown]
	v_and_b32_e32 v32, 0xffff, v26
	v_lshrrev_b32_e32 v33, 16, v1
	v_add_nc_u16 v23, v0, 0x528
	v_lshlrev_b64_e32 v[14:15], 2, v[29:30]
	v_mul_lo_u32 v1, s18, v42
	v_mad_co_u64_u32 v[16:17], null, s16, v32, 0
	v_mul_lo_u16 v18, v33, 17
	v_and_b32_e32 v20, 0xffff, v23
	v_add_co_u32 v21, vcc_lo, s24, v14
	s_wait_alu 0xfffd
	v_add_co_ci_u32_e32 v22, vcc_lo, s25, v15, vcc_lo
	v_sub_nc_u16 v19, v45, v18
	v_mov_b32_e32 v14, v17
	v_lshlrev_b64_e32 v[17:18], 2, v[1:2]
	v_mul_u32_u24_e32 v1, 0xf10, v20
	v_add_nc_u16 v25, v0, 0x5a0
	v_and_b32_e32 v29, 0xffff, v19
	v_mad_co_u64_u32 v[14:15], null, s17, v32, v[14:15]
	s_delay_alu instid0(VALU_DEP_4) | instskip(SKIP_1) | instid1(VALU_DEP_4)
	v_lshrrev_b32_e32 v30, 16, v1
	v_add_co_u32 v21, vcc_lo, v21, v17
	v_mad_co_u64_u32 v[19:20], null, s16, v29, 0
	s_delay_alu instid0(VALU_DEP_3)
	v_mul_lo_u16 v15, v30, 17
	v_mov_b32_e32 v17, v14
	s_wait_alu 0xfffd
	v_add_co_ci_u32_e32 v22, vcc_lo, v22, v18, vcc_lo
	v_and_b32_e32 v18, 0xffff, v25
	v_mul_lo_u32 v1, s18, v36
	v_mov_b32_e32 v14, v20
	v_sub_nc_u16 v20, v23, v15
	v_lshlrev_b64_e32 v[15:16], 2, v[16:17]
	v_mul_u32_u24_e32 v23, 0xf10, v18
	s_delay_alu instid0(VALU_DEP_3) | instskip(NEXT) | instid1(VALU_DEP_3)
	v_and_b32_e32 v45, 0xffff, v20
	v_mad_co_u64_u32 v[17:18], null, s17, v29, v[14:15]
	s_delay_alu instid0(VALU_DEP_3) | instskip(SKIP_3) | instid1(VALU_DEP_4)
	v_lshrrev_b32_e32 v50, 16, v23
	v_add_co_u32 v18, vcc_lo, s24, v15
	v_lshlrev_b64_e32 v[14:15], 2, v[1:2]
	v_mad_co_u64_u32 v[23:24], null, s16, v45, 0
	v_mul_lo_u16 v26, v50, 17
	v_mov_b32_e32 v20, v17
	s_wait_alu 0xfffd
	v_add_co_ci_u32_e32 v16, vcc_lo, s25, v16, vcc_lo
	v_add_co_u32 v14, vcc_lo, v18, v14
	v_sub_nc_u16 v25, v25, v26
	v_lshlrev_b64_e32 v[17:18], 2, v[19:20]
	s_wait_alu 0xfffd
	v_add_co_ci_u32_e32 v15, vcc_lo, v16, v15, vcc_lo
	s_delay_alu instid0(VALU_DEP_3) | instskip(SKIP_1) | instid1(VALU_DEP_4)
	v_dual_mov_b32 v16, v24 :: v_dual_and_b32 v51, 0xffff, v25
	v_mul_lo_u32 v1, s18, v33
	v_add_co_u32 v27, vcc_lo, s24, v17
	s_delay_alu instid0(VALU_DEP_3) | instskip(NEXT) | instid1(VALU_DEP_4)
	v_mad_co_u64_u32 v[19:20], null, s17, v45, v[16:17]
	v_mad_co_u64_u32 v[25:26], null, s16, v51, 0
	v_and_b32_e32 v20, 0xffff, v52
	s_wait_alu 0xfffd
	v_add_co_ci_u32_e32 v28, vcc_lo, s25, v18, vcc_lo
	v_lshlrev_b64_e32 v[16:17], 2, v[1:2]
	v_mov_b32_e32 v24, v19
	v_mul_lo_u32 v1, s18, v30
	v_mov_b32_e32 v18, v26
	v_mul_u32_u24_e32 v26, 0xf10, v20
	s_delay_alu instid0(VALU_DEP_4) | instskip(SKIP_1) | instid1(VALU_DEP_3)
	v_lshlrev_b64_e32 v[19:20], 2, v[23:24]
	v_add_co_u32 v16, vcc_lo, v27, v16
	v_lshrrev_b32_e32 v53, 16, v26
	s_wait_alu 0xfffd
	v_add_co_ci_u32_e32 v17, vcc_lo, v28, v17, vcc_lo
	s_delay_alu instid0(VALU_DEP_4)
	v_mad_co_u64_u32 v[23:24], null, s17, v51, v[18:19]
	v_lshlrev_b64_e32 v[27:28], 2, v[1:2]
	v_mul_lo_u16 v1, v53, 17
	v_add_co_u32 v18, vcc_lo, s24, v19
	s_wait_alu 0xfffd
	v_add_co_ci_u32_e32 v19, vcc_lo, s25, v20, vcc_lo
	v_add_nc_u16 v20, v0, 0x690
	v_sub_nc_u16 v1, v52, v1
	v_mov_b32_e32 v26, v23
	v_add_co_u32 v18, vcc_lo, v18, v27
	s_delay_alu instid0(VALU_DEP_4) | instskip(NEXT) | instid1(VALU_DEP_4)
	v_and_b32_e32 v27, 0xffff, v20
	v_and_b32_e32 v52, 0xffff, v1
	v_mul_lo_u32 v1, s18, v50
	v_lshlrev_b64_e32 v[23:24], 2, v[25:26]
	s_wait_alu 0xfffd
	v_add_co_ci_u32_e32 v19, vcc_lo, v19, v28, vcc_lo
	v_mul_u32_u24_e32 v27, 0xf10, v27
	v_mad_co_u64_u32 v[25:26], null, s16, v52, 0
	s_delay_alu instid0(VALU_DEP_4) | instskip(NEXT) | instid1(VALU_DEP_3)
	v_add_co_u32 v28, vcc_lo, s24, v23
	v_lshrrev_b32_e32 v56, 16, v27
	v_and_b32_e32 v27, 0xffff, v54
	s_wait_alu 0xfffd
	v_add_co_ci_u32_e32 v55, vcc_lo, s25, v24, vcc_lo
	v_lshlrev_b64_e32 v[23:24], 2, v[1:2]
	v_mov_b32_e32 v1, v26
	v_mul_lo_u16 v58, v56, 17
	v_mul_u32_u24_e32 v59, 0xf10, v27
	s_delay_alu instid0(VALU_DEP_3) | instskip(NEXT) | instid1(VALU_DEP_3)
	v_mad_co_u64_u32 v[26:27], null, s17, v52, v[1:2]
	v_sub_nc_u16 v1, v20, v58
	s_delay_alu instid0(VALU_DEP_3)
	v_lshrrev_b32_e32 v58, 16, v59
	v_mul_u32_u24_e32 v20, 0xf10, v60
	v_add_co_u32 v23, vcc_lo, v28, v23
	s_wait_alu 0xfffd
	v_add_co_ci_u32_e32 v24, vcc_lo, v55, v24, vcc_lo
	v_and_b32_e32 v55, 0xffff, v1
	v_mul_lo_u16 v1, v58, 17
	v_lshrrev_b32_e32 v59, 16, v20
	s_delay_alu instid0(VALU_DEP_2) | instskip(NEXT) | instid1(VALU_DEP_2)
	v_sub_nc_u16 v20, v54, v1
	v_mul_lo_u16 v1, v59, 17
	s_clause 0x4
	global_load_b32 v54, v[21:22], off
	global_load_b32 v60, v[14:15], off
	;; [unrolled: 1-line block ×5, first 2 shown]
	v_lshlrev_b64_e32 v[14:15], 2, v[25:26]
	v_sub_nc_u16 v17, v57, v1
	v_and_b32_e32 v57, 0xffff, v20
	v_mul_lo_u32 v1, s18, v53
	s_delay_alu instid0(VALU_DEP_4) | instskip(NEXT) | instid1(VALU_DEP_4)
	v_add_co_u32 v22, vcc_lo, s24, v14
	v_and_b32_e32 v64, 0xffff, v17
	s_delay_alu instid0(VALU_DEP_4) | instskip(SKIP_2) | instid1(VALU_DEP_2)
	v_mad_co_u64_u32 v[17:18], null, s16, v57, 0
	s_wait_alu 0xfffd
	v_add_co_ci_u32_e32 v23, vcc_lo, s25, v15, vcc_lo
	v_mov_b32_e32 v14, v18
	v_mad_co_u64_u32 v[27:28], null, s16, v55, 0
	s_delay_alu instid0(VALU_DEP_1) | instskip(NEXT) | instid1(VALU_DEP_1)
	v_mov_b32_e32 v16, v28
	v_mad_co_u64_u32 v[19:20], null, s17, v55, v[16:17]
	v_mad_co_u64_u32 v[20:21], null, s16, v64, 0
	v_lshlrev_b64_e32 v[15:16], 2, v[1:2]
	v_mul_lo_u32 v1, s18, v56
	s_delay_alu instid0(VALU_DEP_4) | instskip(NEXT) | instid1(VALU_DEP_3)
	v_mov_b32_e32 v28, v19
	v_mad_co_u64_u32 v[18:19], null, s17, v57, v[14:15]
	v_mov_b32_e32 v14, v21
	v_add_co_u32 v15, vcc_lo, v22, v15
	s_delay_alu instid0(VALU_DEP_4) | instskip(SKIP_2) | instid1(VALU_DEP_3)
	v_lshlrev_b64_e32 v[21:22], 2, v[27:28]
	s_wait_alu 0xfffd
	v_add_co_ci_u32_e32 v16, vcc_lo, v23, v16, vcc_lo
	v_mad_co_u64_u32 v[25:26], null, s17, v64, v[14:15]
	v_lshlrev_b64_e32 v[23:24], 2, v[1:2]
	v_mul_lo_u32 v1, s18, v58
	v_add_co_u32 v14, vcc_lo, s24, v21
	s_wait_alu 0xfffd
	v_add_co_ci_u32_e32 v19, vcc_lo, s25, v22, vcc_lo
	v_mov_b32_e32 v21, v25
	s_delay_alu instid0(VALU_DEP_3)
	v_add_co_u32 v22, vcc_lo, v14, v23
	v_lshlrev_b64_e32 v[17:18], 2, v[17:18]
	s_wait_alu 0xfffd
	v_add_co_ci_u32_e32 v23, vcc_lo, v19, v24, vcc_lo
	v_lshlrev_b64_e32 v[24:25], 2, v[1:2]
	v_mul_lo_u32 v1, s18, v59
	v_lshlrev_b64_e32 v[19:20], 2, v[20:21]
	v_add_co_u32 v14, vcc_lo, s24, v17
	s_wait_alu 0xfffd
	v_add_co_ci_u32_e32 v18, vcc_lo, s25, v18, vcc_lo
	s_delay_alu instid0(VALU_DEP_3)
	v_add_co_u32 v19, vcc_lo, s24, v19
	v_lshlrev_b64_e32 v[1:2], 2, v[1:2]
	s_wait_alu 0xfffd
	v_add_co_ci_u32_e32 v20, vcc_lo, s25, v20, vcc_lo
	v_add_co_u32 v17, vcc_lo, v14, v24
	s_wait_alu 0xfffd
	v_add_co_ci_u32_e32 v18, vcc_lo, v18, v25, vcc_lo
	v_add_co_u32 v1, vcc_lo, v19, v1
	s_wait_alu 0xfffd
	v_add_co_ci_u32_e32 v2, vcc_lo, v20, v2, vcc_lo
	s_clause 0x3
	global_load_b32 v14, v[15:16], off
	global_load_b32 v15, v[22:23], off
	;; [unrolled: 1-line block ×4, first 2 shown]
	v_mul_u32_u24_e32 v2, 0x48, v3
	v_lshlrev_b32_e32 v3, 2, v6
	v_lshlrev_b32_e32 v6, 2, v9
	v_mul_u32_u24_e32 v9, 0x48, v38
	s_delay_alu instid0(VALU_DEP_3) | instskip(NEXT) | instid1(VALU_DEP_3)
	v_add3_u32 v2, 0, v2, v3
	v_add3_u32 v3, 0, v5, v6
	v_lshlrev_b32_e32 v5, 2, v7
	v_lshlrev_b32_e32 v6, 2, v12
	v_mul_u32_u24_e32 v7, 0x48, v13
	s_wait_loadcnt 0x10
	ds_store_b32 v2, v34
	s_wait_loadcnt 0xf
	ds_store_b32 v3, v35
	v_add3_u32 v2, 0, v4, v5
	v_mul_u32_u24_e32 v3, 0x48, v8
	v_lshlrev_b32_e32 v4, 2, v10
	v_mul_u32_u24_e32 v5, 0x48, v11
	v_lshlrev_b32_e32 v8, 2, v37
	v_lshlrev_b32_e32 v10, 2, v39
	s_wait_loadcnt 0xe
	ds_store_b32 v2, v44
	v_add3_u32 v2, 0, v3, v4
	v_add3_u32 v3, 0, v5, v6
	;; [unrolled: 1-line block ×3, first 2 shown]
	v_mul_u32_u24_e32 v6, 0x48, v40
	v_lshlrev_b32_e32 v7, 2, v41
	v_add3_u32 v5, 0, v9, v10
	s_wait_loadcnt 0xd
	ds_store_b32 v2, v46
	s_wait_loadcnt 0xc
	ds_store_b32 v3, v47
	;; [unrolled: 2-line block ×4, first 2 shown]
	v_mul_u32_u24_e32 v3, 0x48, v42
	v_add3_u32 v2, 0, v6, v7
	v_lshlrev_b32_e32 v4, 2, v43
	v_mul_u32_u24_e32 v5, 0x48, v36
	v_lshlrev_b32_e32 v6, 2, v32
	v_mul_u32_u24_e32 v7, 0x48, v33
	;; [unrolled: 2-line block ×3, first 2 shown]
	v_lshlrev_b32_e32 v10, 2, v45
	s_wait_loadcnt 0x9
	ds_store_b32 v2, v31
	v_add3_u32 v2, 0, v3, v4
	v_add3_u32 v3, 0, v5, v6
	;; [unrolled: 1-line block ×3, first 2 shown]
	v_mul_u32_u24_e32 v6, 0x48, v50
	v_lshlrev_b32_e32 v7, 2, v51
	v_add3_u32 v5, 0, v9, v10
	v_mul_u32_u24_e32 v9, 0x48, v59
	v_lshlrev_b32_e32 v10, 2, v64
	v_lshlrev_b32_e32 v8, 2, v57
	s_wait_loadcnt 0x8
	ds_store_b32 v2, v54
	s_wait_loadcnt 0x7
	ds_store_b32 v3, v60
	;; [unrolled: 2-line block ×4, first 2 shown]
	v_add3_u32 v2, 0, v6, v7
	v_mul_u32_u24_e32 v3, 0x48, v53
	v_lshlrev_b32_e32 v4, 2, v52
	v_mul_u32_u24_e32 v5, 0x48, v56
	v_lshlrev_b32_e32 v6, 2, v55
	v_mul_u32_u24_e32 v7, 0x48, v58
	s_wait_loadcnt 0x4
	ds_store_b32 v2, v63
	v_add3_u32 v3, 0, v3, v4
	v_add3_u32 v2, 0, v9, v10
	;; [unrolled: 1-line block ×4, first 2 shown]
	s_wait_loadcnt 0x3
	ds_store_b32 v3, v14
	s_wait_loadcnt 0x2
	ds_store_b32 v4, v15
	;; [unrolled: 2-line block ×4, first 2 shown]
.LBB0_2:
	s_load_b64 s[22:23], s[22:23], 0x0
	s_and_not1_b32 vcc_lo, exec_lo, s7
	s_wait_alu 0xfffe
	s_cbranch_vccnz .LBB0_6
; %bb.3:
	v_dual_mov_b32 v2, 0 :: v_dual_mov_b32 v3, v0
	s_lshl_b64 s[10:11], s[10:11], 2
	s_mov_b32 s7, 0
	s_add_nc_u64 s[10:11], s[20:21], s[10:11]
.LBB0_4:                                ; =>This Inner Loop Header: Depth=1
	s_delay_alu instid0(VALU_DEP_1) | instskip(NEXT) | instid1(VALU_DEP_1)
	v_and_b32_e32 v1, 0xffff, v3
	v_mul_u32_u24_e32 v1, 0xf0f1, v1
	s_delay_alu instid0(VALU_DEP_1) | instskip(NEXT) | instid1(VALU_DEP_1)
	v_lshrrev_b32_e32 v8, 20, v1
	v_mul_lo_u16 v1, v8, 17
	s_delay_alu instid0(VALU_DEP_1) | instskip(SKIP_1) | instid1(VALU_DEP_2)
	v_sub_nc_u16 v1, v3, v1
	v_add_nc_u32_e32 v3, 0x78, v3
	v_and_b32_e32 v9, 0xffff, v1
	s_delay_alu instid0(VALU_DEP_1) | instskip(NEXT) | instid1(VALU_DEP_1)
	v_mad_co_u64_u32 v[4:5], null, s16, v9, 0
	v_mov_b32_e32 v1, v5
	s_delay_alu instid0(VALU_DEP_1) | instskip(SKIP_1) | instid1(VALU_DEP_2)
	v_mad_co_u64_u32 v[5:6], null, s17, v9, v[1:2]
	v_mul_lo_u32 v1, v8, s18
	v_lshlrev_b64_e32 v[4:5], 2, v[4:5]
	s_delay_alu instid0(VALU_DEP_2) | instskip(NEXT) | instid1(VALU_DEP_2)
	v_lshlrev_b64_e32 v[6:7], 2, v[1:2]
	v_add_co_u32 v1, vcc_lo, s10, v4
	s_wait_alu 0xfffd
	s_delay_alu instid0(VALU_DEP_3) | instskip(NEXT) | instid1(VALU_DEP_2)
	v_add_co_ci_u32_e32 v5, vcc_lo, s11, v5, vcc_lo
	v_add_co_u32 v4, vcc_lo, v1, v6
	s_wait_alu 0xfffd
	s_delay_alu instid0(VALU_DEP_2)
	v_add_co_ci_u32_e32 v5, vcc_lo, v5, v7, vcc_lo
	v_cmp_lt_u32_e32 vcc_lo, 0x7f7, v3
	global_load_b32 v1, v[4:5], off
	v_mul_u32_u24_e32 v4, 0x48, v8
	v_lshlrev_b32_e32 v5, 2, v9
	s_wait_alu 0xfffe
	s_or_b32 s7, vcc_lo, s7
	s_delay_alu instid0(VALU_DEP_1)
	v_add3_u32 v4, 0, v4, v5
	s_wait_loadcnt 0x0
	ds_store_b32 v4, v1
	s_wait_alu 0xfffe
	s_and_not1_b32 exec_lo, exec_lo, s7
	s_cbranch_execnz .LBB0_4
; %bb.5:
	s_or_b32 exec_lo, exec_lo, s7
.LBB0_6:
	v_add_nc_u32_e32 v1, s8, v0
	global_wb scope:SCOPE_SE
	s_wait_dscnt 0x0
	s_wait_kmcnt 0x0
	s_barrier_signal -1
	s_barrier_wait -1
	global_inv scope:SCOPE_SE
	v_mul_hi_u32 v2, 0x88888889, v1
	s_load_b64 s[0:1], s[0:1], 0x60
	s_mov_b32 s7, 0
	s_mul_i32 s6, s13, s6
	s_wait_alu 0xfffe
	s_mov_b32 s9, s7
	s_mul_u64 s[14:15], s[22:23], s[14:15]
	s_wait_alu 0xfffe
	s_mul_u64 s[10:11], s[4:5], s[8:9]
	s_and_not1_b32 vcc_lo, exec_lo, s3
	v_lshrrev_b32_e32 v2, 6, v2
	s_wait_alu 0xfffe
	s_add_nc_u64 s[6:7], s[10:11], s[6:7]
	s_mov_b32 s3, -1
	s_wait_alu 0xfffe
	s_add_nc_u64 s[6:7], s[6:7], s[14:15]
	v_mul_lo_u32 v2, 0x78, v2
	s_delay_alu instid0(VALU_DEP_1) | instskip(NEXT) | instid1(VALU_DEP_1)
	v_sub_nc_u32_e32 v1, v1, v2
	v_mad_u32_u24 v17, 0x48, v1, 0
	ds_load_2addr_b32 v[15:16], v17 offset0:1 offset1:2
	ds_load_2addr_b32 v[3:4], v17 offset0:3 offset1:4
	;; [unrolled: 1-line block ×4, first 2 shown]
	ds_load_b32 v18, v17
	ds_load_2addr_b32 v[5:6], v17 offset0:9 offset1:10
	ds_load_2addr_b32 v[13:14], v17 offset0:11 offset1:12
	;; [unrolled: 1-line block ×4, first 2 shown]
	global_wb scope:SCOPE_SE
	s_wait_dscnt 0x0
	s_wait_kmcnt 0x0
	s_barrier_signal -1
	s_barrier_wait -1
	global_inv scope:SCOPE_SE
	v_lshrrev_b32_e32 v66, 16, v15
	v_lshrrev_b32_e32 v67, 16, v16
	v_lshrrev_b32_e32 v44, 16, v3
	v_lshrrev_b32_e32 v42, 16, v4
	v_lshrrev_b32_e32 v20, 16, v18
	v_lshrrev_b32_e32 v41, 16, v9
	v_lshrrev_b32_e32 v38, 16, v10
	v_lshrrev_b32_e32 v36, 16, v1
	v_lshrrev_b32_e32 v54, 16, v8
	v_sub_f16_e32 v23, v15, v8
	v_add_f16_e32 v24, v8, v15
	v_add_f16_e32 v15, v15, v18
	v_lshrrev_b32_e32 v30, 16, v2
	v_add_f16_e32 v21, v54, v66
	v_sub_f16_e32 v22, v66, v54
	v_add_f16_e32 v66, v66, v20
	v_add_f16_e32 v15, v15, v16
	v_lshrrev_b32_e32 v31, 16, v5
	v_lshrrev_b32_e32 v40, 16, v6
	v_add_f16_e32 v90, v14, v9
	v_add_f16_e32 v66, v66, v67
	;; [unrolled: 1-line block ×3, first 2 shown]
	v_sub_f16_e32 v91, v9, v14
	v_lshrrev_b32_e32 v43, 16, v13
	v_lshrrev_b32_e32 v48, 16, v14
	v_add_f16_e32 v66, v66, v44
	v_add_f16_e32 v15, v15, v4
	v_lshrrev_b32_e32 v56, 16, v11
	v_lshrrev_b32_e32 v58, 16, v12
	v_mul_f16_e32 v19, 0xb5c8, v23
	v_add_f16_e32 v66, v66, v42
	v_add_f16_e32 v15, v15, v9
	v_lshrrev_b32_e32 v59, 16, v7
	v_mul_f16_e32 v27, 0xb964, v23
	v_fmamk_f16 v46, v21, 0x3b76, v19
	v_add_f16_e32 v66, v66, v41
	v_add_f16_e32 v15, v15, v10
	v_fma_f16 v47, v21, 0x3b76, -v19
	v_mul_f16_e32 v19, 0xba62, v23
	v_sub_f16_e32 v92, v4, v11
	v_add_f16_e32 v66, v66, v38
	v_add_f16_e32 v15, v15, v1
	v_mul_f16_e32 v28, 0xbb29, v23
	v_mul_f16_e32 v37, 0xbbf7, v23
	;; [unrolled: 1-line block ×3, first 2 shown]
	v_add_f16_e32 v66, v66, v36
	v_add_f16_e32 v15, v15, v2
	v_fmamk_f16 v49, v21, 0x39e9, v27
	v_fma_f16 v50, v21, 0x39e9, -v27
	v_mul_f16_e32 v27, 0xbb29, v22
	v_add_f16_e32 v66, v66, v30
	v_add_f16_e32 v15, v15, v5
	v_mul_f16_e32 v29, 0xbbb2, v22
	v_fmamk_f16 v63, v21, 0xb8d2, v19
	v_fma_f16 v64, v21, 0xb8d2, -v19
	v_add_f16_e32 v9, v66, v31
	v_add_f16_e32 v15, v15, v6
	v_sub_f16_e32 v66, v3, v12
	v_sub_f16_e32 v19, v67, v59
	;; [unrolled: 1-line block ×3, first 2 shown]
	v_mul_f16_e32 v45, 0xbbb2, v23
	v_add_f16_e32 v89, v15, v13
	v_add_f16_e32 v15, v13, v10
	v_sub_f16_e32 v10, v10, v13
	v_add_f16_e32 v13, v12, v3
	v_add_f16_e32 v3, v9, v40
	;; [unrolled: 1-line block ×4, first 2 shown]
	v_fmamk_f16 v52, v21, 0x3722, v28
	v_fma_f16 v53, v21, 0x3722, -v28
	v_add_f16_e32 v3, v3, v43
	v_add_f16_e32 v14, v14, v11
	v_mul_f16_e32 v28, 0xbbf7, v22
	v_fmamk_f16 v55, v21, 0x2de8, v37
	v_fma_f16 v32, v24, 0x3b76, -v25
	v_add_f16_e32 v3, v3, v48
	v_add_f16_e32 v4, v14, v12
	v_fmac_f16_e32 v25, 0x3b76, v24
	v_fma_f16 v34, v24, 0x3722, -v27
	v_fma_f16 v60, v21, 0x2de8, -v37
	v_add_f16_e32 v3, v3, v56
	v_add_f16_e32 v4, v4, v7
	v_fma_f16 v37, v24, 0xb461, -v29
	v_fmac_f16_e32 v29, 0xb461, v24
	v_mul_f16_e32 v51, 0xb836, v22
	v_add_f16_e32 v3, v3, v58
	v_mul_f16_e32 v68, 0xb836, v23
	v_add_f16_e32 v70, v7, v16
	v_add_f16_e32 v71, v59, v67
	v_mul_f16_e32 v72, 0xb964, v19
	v_add_f16_e32 v3, v3, v59
	v_mul_f16_e32 v76, 0xbbf7, v69
	v_mul_f16_e32 v78, 0xba62, v19
	;; [unrolled: 1-line block ×4, first 2 shown]
	v_add_f16_e32 v4, v4, v8
	v_add_f16_e32 v3, v3, v54
	v_pack_b32_f16 v23, v23, v24
	v_mul_f16_e32 v26, 0xb964, v22
	v_fmac_f16_e32 v27, 0x3722, v24
	v_fma_f16 v35, v24, 0x2de8, -v28
	v_fmac_f16_e32 v28, 0x2de8, v24
	v_mul_f16_e32 v39, 0xba62, v22
	v_fmamk_f16 v61, v21, 0xb461, v45
	v_fma_f16 v62, v21, 0xb461, -v45
	v_fma_f16 v57, v24, 0xbacd, -v51
	v_fmamk_f16 v65, v21, 0xbacd, v68
	v_mul_f16_e32 v16, 0xb964, v69
	v_fma_f16 v68, v21, 0xbacd, -v68
	v_fma_f16 v73, v70, 0x39e9, -v72
	v_fmac_f16_e32 v72, 0x39e9, v70
	v_fmamk_f16 v67, v71, 0x2de8, v76
	v_mul_f16_e32 v79, 0xba62, v69
	v_fma_f16 v76, v71, 0x2de8, -v76
	v_fma_f16 v80, v70, 0xb8d2, -v78
	v_mul_f16_e32 v82, 0xb1e1, v19
	v_fmamk_f16 v85, v71, 0xbbdd, v83
	v_fma_f16 v83, v71, 0xbbdd, -v83
	v_fma_f16 v87, v70, 0xbacd, -v86
	v_mul_f16_e32 v88, 0x3836, v69
	v_add_f16_e32 v9, v6, v1
	v_sub_f16_e32 v6, v1, v6
	v_add_f16_e32 v1, v5, v2
	v_sub_f16_e32 v2, v2, v5
	v_fmac_f16_e32 v86, 0xbacd, v70
	v_mul_f16_e32 v94, 0x3bb2, v69
	v_add_f16_e32 v96, v58, v44
	v_sub_f16_e32 v44, v44, v58
	v_add_f16_e32 v59, v56, v42
	v_sub_f16_e32 v42, v42, v56
	;; [unrolled: 2-line block ×3, first 2 shown]
	v_mul_f16_e32 v48, 0x3b29, v19
	v_add_f16_e32 v11, v43, v38
	v_sub_f16_e32 v12, v38, v43
	v_add_f16_e32 v7, v40, v36
	v_sub_f16_e32 v8, v36, v40
	v_lshlrev_b32_e32 v3, 16, v3
	v_and_b32_e32 v36, 0xffff, v4
	v_add_f16_e32 v4, v31, v30
	v_sub_f16_e32 v5, v30, v31
	v_mul_f16_e32 v30, 0x3b29, v69
	v_add_f16_e32 v38, v46, v20
	v_add_f16_e32 v40, v47, v20
	;; [unrolled: 1-line block ×5, first 2 shown]
	v_pack_b32_f16 v21, v21, v22
	v_pk_mul_f16 v22, 0xbbddb1e1, v23
	v_add_f16_e32 v25, v25, v18
	v_add_f16_e32 v34, v34, v18
	;; [unrolled: 1-line block ×3, first 2 shown]
	v_pack_b32_f16 v69, v69, v70
	v_fma_f16 v33, v24, 0x39e9, -v26
	v_fmac_f16_e32 v26, 0x39e9, v24
	v_fmamk_f16 v74, v71, 0x39e9, v16
	v_mul_f16_e32 v75, 0xbbf7, v19
	v_fmamk_f16 v81, v71, 0xb8d2, v79
	v_fmac_f16_e32 v78, 0xb8d2, v70
	v_fma_f16 v84, v70, 0xbbdd, -v82
	v_fmac_f16_e32 v82, 0xbbdd, v70
	v_mul_f16_e32 v93, 0x3bb2, v19
	v_fma_f16 v31, v71, 0xb461, -v94
	v_or_b32_e32 v3, v3, v36
	v_fma_f16 v36, v70, 0x3722, -v48
	v_add_f16_e32 v43, v49, v20
	v_add_f16_e32 v49, v53, v20
	;; [unrolled: 1-line block ×7, first 2 shown]
	v_pk_fma_f16 v61, 0xb1e1bbdd, v21, v22 neg_lo:[0,1,0] neg_hi:[0,1,0]
	v_pk_fma_f16 v62, 0xb1e1bbdd, v21, v22
	v_pk_fma_f16 v21, 0xb1e1bbdd, v21, v22 neg_lo:[0,0,1] neg_hi:[0,0,1]
	v_mul_f16_e32 v22, 0xbb29, v44
	v_add_f16_e32 v27, v27, v18
	v_add_f16_e32 v28, v28, v18
	v_add_f16_e32 v57, v57, v18
	v_add_f16_e32 v25, v72, v25
	v_mul_f16_e32 v65, 0xba62, v44
	v_mul_f16_e32 v72, 0x31e1, v44
	v_add_f16_e32 v46, v76, v46
	v_add_f16_e32 v34, v80, v34
	v_mul_f16_e32 v76, 0x3bb2, v44
	v_mul_f16_e32 v80, 0x3964, v44
	v_add_f16_e32 v52, v83, v52
	v_add_f16_e32 v29, v86, v29
	v_mul_f16_e32 v83, 0xb5c8, v44
	v_mul_f16_e32 v86, 0xbbf7, v44
	v_pack_b32_f16 v19, v71, v19
	v_pk_mul_f16 v69, 0x3b7635c8, v69
	v_fma_f16 v45, v24, 0xb8d2, -v39
	v_fmac_f16_e32 v39, 0xb8d2, v24
	v_fmac_f16_e32 v51, 0xbacd, v24
	v_fma_f16 v77, v70, 0x2de8, -v75
	v_fmac_f16_e32 v75, 0x2de8, v70
	v_fmamk_f16 v14, v71, 0xbacd, v88
	v_fma_f16 v88, v71, 0xbacd, -v88
	v_fmamk_f16 v24, v71, 0x3722, v30
	v_add_f16_e32 v23, v63, v20
	v_add_f16_e32 v20, v68, v20
	;; [unrolled: 1-line block ×4, first 2 shown]
	v_pk_add_f16 v61, v61, v18 op_sel:[0,1] op_sel_hi:[1,0]
	v_fma_f16 v30, v71, 0x3722, -v30
	v_fma_f16 v63, v13, 0x3722, -v22
	v_add_f16_e32 v38, v74, v38
	v_fmac_f16_e32 v22, 0x3722, v13
	v_fma_f16 v68, v13, 0xb8d2, -v65
	v_fmac_f16_e32 v65, 0xb8d2, v13
	v_fma_f16 v74, v13, 0xbbdd, -v72
	v_add_f16_e32 v47, v81, v47
	v_fmac_f16_e32 v72, 0xbbdd, v13
	v_add_f16_e32 v27, v78, v27
	v_fma_f16 v78, v13, 0xb461, -v76
	v_add_f16_e32 v50, v85, v50
	v_fmac_f16_e32 v76, 0xb461, v13
	v_add_f16_e32 v28, v82, v28
	v_mul_f16_e32 v81, 0x3964, v66
	v_fma_f16 v82, v13, 0x39e9, -v80
	v_fmac_f16_e32 v80, 0x39e9, v13
	v_fma_f16 v85, v13, 0x3b76, -v83
	v_fmac_f16_e32 v83, 0x3b76, v13
	v_add_f16_e32 v31, v31, v55
	v_fma_f16 v55, v13, 0x2de8, -v86
	v_fmac_f16_e32 v86, 0x2de8, v13
	v_add_f16_e32 v36, v36, v57
	v_pk_fma_f16 v57, 0x35c83b76, v19, v69 neg_lo:[0,1,0] neg_hi:[0,1,0]
	v_pack_b32_f16 v13, v66, v13
	v_fma_f16 v16, v71, 0x39e9, -v16
	v_fma_f16 v95, v70, 0xb461, -v93
	v_fmamk_f16 v58, v71, 0xb461, v94
	v_fmac_f16_e32 v93, 0xb461, v70
	v_fmac_f16_e32 v48, 0x3722, v70
	v_add_f16_e32 v32, v32, v18
	v_add_f16_e32 v33, v33, v18
	;; [unrolled: 1-line block ×6, first 2 shown]
	v_pk_add_f16 v62, v62, v18 op_sel:[0,1] op_sel_hi:[1,0]
	v_pk_add_f16 v18, v21, v18 op_sel:[0,1] op_sel_hi:[1,0]
	v_mul_f16_e32 v21, 0xbb29, v66
	v_add_f16_e32 v26, v75, v26
	v_add_f16_e32 v35, v84, v35
	;; [unrolled: 1-line block ×3, first 2 shown]
	v_fmamk_f16 v53, v96, 0x39e9, v81
	v_add_f16_e32 v54, v88, v54
	v_mul_f16_e32 v84, 0xb5c8, v66
	v_fma_f16 v81, v96, 0x39e9, -v81
	v_mul_f16_e32 v70, 0xbbf7, v66
	v_add_f16_e32 v20, v30, v20
	v_pk_add_f16 v30, v57, v61
	v_pk_fma_f16 v57, 0x35c83b76, v19, v69
	v_pack_b32_f16 v44, v96, v44
	v_pk_mul_f16 v13, 0xbacdb836, v13
	v_fma_f16 v79, v71, 0xb8d2, -v79
	v_add_f16_e32 v32, v73, v32
	v_fmamk_f16 v64, v96, 0x3722, v21
	v_add_f16_e32 v16, v16, v40
	v_mul_f16_e32 v40, 0xba62, v66
	v_fma_f16 v21, v96, 0x3722, -v21
	v_add_f16_e32 v33, v77, v33
	v_mul_f16_e32 v73, 0x31e1, v66
	v_add_f16_e32 v23, v58, v23
	v_fmamk_f16 v58, v96, 0x3b76, v84
	v_fmamk_f16 v71, v96, 0x2de8, v70
	v_add_f16_e32 v24, v24, v60
	v_mul_f16_e32 v60, 0xbbf7, v42
	v_pk_fma_f16 v19, 0x35c83b76, v19, v69 neg_lo:[0,0,1] neg_hi:[0,0,1]
	v_pk_add_f16 v57, v57, v62
	v_mul_f16_e32 v62, 0xb1e1, v42
	v_add_f16_e32 v22, v22, v25
	v_mul_f16_e32 v25, 0x3bb2, v42
	v_add_f16_e32 v26, v65, v26
	;; [unrolled: 2-line block ×4, first 2 shown]
	v_pk_fma_f16 v55, 0xb836bacd, v44, v13 neg_lo:[0,1,0] neg_hi:[0,1,0]
	v_pack_b32_f16 v88, v92, v89
	v_add_f16_e32 v43, v67, v43
	v_fmamk_f16 v67, v96, 0xb8d2, v40
	v_fma_f16 v40, v96, 0xb8d2, -v40
	v_fmamk_f16 v75, v96, 0xbbdd, v73
	v_add_f16_e32 v49, v79, v49
	v_mul_f16_e32 v77, 0x3bb2, v66
	v_fma_f16 v73, v96, 0xbbdd, -v73
	v_add_f16_e32 v37, v87, v37
	v_add_f16_e32 v39, v93, v39
	;; [unrolled: 1-line block ×3, first 2 shown]
	v_mul_f16_e32 v51, 0xbbf7, v92
	v_fma_f16 v61, v89, 0x2de8, -v60
	v_fmac_f16_e32 v60, 0x2de8, v89
	v_pk_add_f16 v18, v19, v18
	v_mul_f16_e32 v19, 0xb1e1, v92
	v_add_f16_e32 v32, v63, v32
	v_fma_f16 v63, v89, 0xbbdd, -v62
	v_fmac_f16_e32 v62, 0xbbdd, v89
	v_add_f16_e32 v16, v21, v16
	v_mul_f16_e32 v21, 0x3bb2, v92
	v_add_f16_e32 v33, v68, v33
	v_fma_f16 v68, v89, 0xb461, -v25
	v_fmac_f16_e32 v25, 0xb461, v89
	v_add_f16_e32 v34, v74, v34
	v_fma_f16 v74, v89, 0x3b76, -v65
	v_fmac_f16_e32 v65, 0x3b76, v89
	v_add_f16_e32 v27, v72, v27
	v_mul_f16_e32 v72, 0xbb29, v42
	v_add_f16_e32 v28, v76, v28
	v_mul_f16_e32 v76, 0xb836, v42
	;; [unrolled: 2-line block ×3, first 2 shown]
	v_add_f16_e32 v23, v58, v23
	v_fmamk_f16 v58, v59, 0xb8d2, v81
	v_add_f16_e32 v24, v71, v24
	v_pk_add_f16 v30, v55, v30
	v_pk_fma_f16 v55, 0xb836bacd, v44, v13
	v_pk_fma_f16 v13, 0xb836bacd, v44, v13 neg_lo:[0,0,1] neg_hi:[0,0,1]
	v_pack_b32_f16 v42, v59, v42
	v_pk_mul_f16 v88, 0x39e93964, v88
	v_fmamk_f16 v79, v96, 0xb461, v77
	v_fma_f16 v77, v96, 0xb461, -v77
	v_add_f16_e32 v45, v95, v45
	v_fma_f16 v84, v96, 0x3b76, -v84
	v_fma_f16 v70, v96, 0x2de8, -v70
	v_fmamk_f16 v69, v59, 0x2de8, v51
	v_fma_f16 v51, v59, 0x2de8, -v51
	v_add_f16_e32 v38, v64, v38
	v_fmamk_f16 v64, v59, 0xbbdd, v19
	v_fma_f16 v19, v59, 0xbbdd, -v19
	v_add_f16_e32 v43, v67, v43
	v_fmamk_f16 v67, v59, 0xb461, v21
	v_add_f16_e32 v40, v40, v46
	v_mul_f16_e32 v46, 0x35c8, v92
	v_fma_f16 v21, v59, 0xb461, -v21
	v_add_f16_e32 v49, v73, v49
	v_mul_f16_e32 v73, 0xbb29, v92
	v_add_f16_e32 v35, v78, v35
	v_fma_f16 v78, v89, 0x3722, -v72
	v_add_f16_e32 v37, v82, v37
	v_add_f16_e32 v39, v83, v39
	v_mul_f16_e32 v83, 0xbbb2, v41
	v_mul_f16_e32 v66, 0xbbb2, v91
	;; [unrolled: 1-line block ×3, first 2 shown]
	v_add_f16_e32 v48, v86, v48
	v_mul_f16_e32 v86, 0x3836, v91
	v_pk_add_f16 v55, v55, v57
	v_mul_f16_e32 v57, 0x3964, v41
	v_pk_add_f16 v13, v13, v18
	v_mul_f16_e32 v18, 0x3964, v91
	v_add_f16_e32 v22, v60, v22
	v_mul_f16_e32 v60, 0xbb29, v41
	v_add_f16_e32 v26, v62, v26
	;; [unrolled: 2-line block ×5, first 2 shown]
	v_pk_fma_f16 v58, 0x396439e9, v42, v88 neg_lo:[0,1,0] neg_hi:[0,1,0]
	v_add_f16_e32 v47, v75, v47
	v_fmamk_f16 v75, v59, 0x3b76, v46
	v_fma_f16 v46, v59, 0x3b76, -v46
	v_add_f16_e32 v50, v79, v50
	v_fmamk_f16 v79, v59, 0x3722, v73
	v_add_f16_e32 v52, v77, v52
	v_mul_f16_e32 v77, 0xb836, v92
	v_fma_f16 v73, v59, 0x3722, -v73
	v_add_f16_e32 v45, v85, v45
	v_fma_f16 v85, v89, 0xb8d2, -v80
	v_fmac_f16_e32 v80, 0xb8d2, v89
	v_add_f16_e32 v31, v84, v31
	v_fma_f16 v84, v90, 0xb461, -v83
	v_fmamk_f16 v87, v56, 0xb461, v66
	v_fmac_f16_e32 v83, 0xb461, v90
	v_fma_f16 v66, v56, 0xb461, -v66
	v_add_f16_e32 v20, v70, v20
	v_fma_f16 v70, v90, 0xbacd, -v71
	v_fmamk_f16 v44, v56, 0xbacd, v86
	v_fmac_f16_e32 v71, 0xbacd, v90
	v_fma_f16 v86, v56, 0xbacd, -v86
	v_add_f16_e32 v32, v61, v32
	v_fma_f16 v61, v90, 0x39e9, -v57
	v_add_f16_e32 v38, v69, v38
	v_fmamk_f16 v69, v56, 0x39e9, v18
	v_fmac_f16_e32 v57, 0x39e9, v90
	v_add_f16_e32 v16, v51, v16
	v_mul_f16_e32 v51, 0xbb29, v91
	v_fma_f16 v18, v56, 0x39e9, -v18
	v_add_f16_e32 v33, v63, v33
	v_fma_f16 v63, v90, 0x3722, -v60
	v_fmac_f16_e32 v60, 0x3722, v90
	v_add_f16_e32 v19, v19, v40
	v_add_f16_e32 v34, v68, v34
	v_fma_f16 v68, v90, 0xbbdd, -v62
	v_fmac_f16_e32 v62, 0xbbdd, v90
	v_add_f16_e32 v21, v21, v49
	;; [unrolled: 4-line block ×3, first 2 shown]
	v_fma_f16 v78, v90, 0x3b76, -v65
	v_fmac_f16_e32 v65, 0x3b76, v90
	v_pk_add_f16 v30, v58, v30
	v_pk_fma_f16 v58, 0x396439e9, v42, v88
	v_pk_fma_f16 v42, 0x396439e9, v42, v88 neg_lo:[0,0,1] neg_hi:[0,0,1]
	v_pack_b32_f16 v90, v91, v90
	v_fmac_f16_e32 v72, 0x3722, v89
	v_fma_f16 v82, v89, 0xbacd, -v76
	v_add_f16_e32 v14, v53, v14
	v_fmamk_f16 v53, v59, 0xbacd, v77
	v_fmac_f16_e32 v76, 0xbacd, v89
	v_fma_f16 v81, v59, 0xb8d2, -v81
	v_add_f16_e32 v43, v64, v43
	v_fmamk_f16 v64, v56, 0x3722, v51
	v_add_f16_e32 v47, v67, v47
	v_add_f16_e32 v50, v75, v50
	;; [unrolled: 1-line block ×3, first 2 shown]
	v_mul_f16_e32 v52, 0xb5c8, v91
	v_add_f16_e32 v54, v73, v54
	v_mul_f16_e32 v73, 0xba62, v10
	v_mul_f16_e32 v89, 0x3bb2, v10
	v_add_f16_e32 v36, v85, v36
	v_add_f16_e32 v48, v80, v48
	v_mul_f16_e32 v80, 0xb5c8, v10
	v_pk_add_f16 v13, v42, v13
	v_mul_f16_e32 v42, 0xb836, v10
	v_add_f16_e32 v16, v66, v16
	v_mul_f16_e32 v66, 0x3bf7, v10
	v_add_f16_e32 v19, v86, v19
	;; [unrolled: 2-line block ×4, first 2 shown]
	v_mul_f16_e32 v21, 0xb1e1, v10
	v_pack_b32_f16 v41, v56, v41
	v_pk_mul_f16 v90, 0xb8d2ba62, v90
	v_pack_b32_f16 v10, v10, v15
	v_fma_f16 v77, v59, 0xbacd, -v77
	v_add_f16_e32 v14, v79, v14
	v_fmamk_f16 v79, v56, 0x3b76, v52
	v_add_f16_e32 v29, v72, v29
	v_mul_f16_e32 v72, 0xba62, v12
	v_fma_f16 v52, v56, 0x3b76, -v52
	v_add_f16_e32 v23, v53, v23
	v_fmamk_f16 v53, v11, 0xb8d2, v73
	v_fma_f16 v73, v11, 0xb8d2, -v73
	v_fmamk_f16 v59, v11, 0xb461, v89
	v_fma_f16 v89, v11, 0xb461, -v89
	v_add_f16_e32 v20, v81, v20
	v_fmamk_f16 v88, v11, 0x3b76, v80
	v_fma_f16 v80, v11, 0x3b76, -v80
	v_add_f16_e32 v38, v87, v38
	;; [unrolled: 3-line block ×5, first 2 shown]
	v_fma_f16 v63, v15, 0xbbdd, -v57
	v_add_f16_e32 v50, v64, v50
	v_fmamk_f16 v64, v11, 0xbbdd, v21
	v_fma_f16 v21, v11, 0xbbdd, -v21
	v_add_f16_e32 v36, v78, v36
	v_pk_fma_f16 v78, 0xba62b8d2, v41, v90 neg_lo:[0,1,0] neg_hi:[0,1,0]
	v_pack_b32_f16 v11, v11, v12
	v_pk_mul_f16 v10, 0x37223b29, v10
	v_mul_f16_e32 v40, 0xb1e1, v91
	v_fma_f16 v51, v56, 0x3722, -v51
	v_mul_f16_e32 v49, 0x3bf7, v91
	v_add_f16_e32 v45, v82, v45
	v_fma_f16 v82, v15, 0xb8d2, -v72
	v_fmac_f16_e32 v72, 0xb8d2, v15
	v_add_f16_e32 v39, v76, v39
	v_mul_f16_e32 v76, 0x3bb2, v12
	v_mul_f16_e32 v85, 0xb5c8, v12
	v_pk_add_f16 v55, v58, v55
	v_mul_f16_e32 v58, 0xb836, v12
	v_add_f16_e32 v22, v83, v22
	v_mul_f16_e32 v83, 0x3bf7, v12
	v_add_f16_e32 v26, v71, v26
	;; [unrolled: 2-line block ×4, first 2 shown]
	v_pk_add_f16 v30, v78, v30
	v_pk_fma_f16 v52, 0xba62b8d2, v41, v90
	v_add_f16_e32 v36, v63, v36
	v_pk_fma_f16 v63, 0x3b293722, v11, v10 neg_lo:[0,1,0] neg_hi:[0,1,0]
	v_fmamk_f16 v67, v56, 0xbbdd, v40
	v_fma_f16 v40, v56, 0xbbdd, -v40
	v_fmamk_f16 v75, v56, 0x2de8, v49
	v_fma_f16 v49, v56, 0x2de8, -v49
	v_add_f16_e32 v31, v77, v31
	v_fma_f16 v77, v15, 0xb461, -v76
	v_fmac_f16_e32 v76, 0xb461, v15
	v_fma_f16 v81, v15, 0x3b76, -v85
	v_fmac_f16_e32 v85, 0x3b76, v15
	v_add_f16_e32 v32, v84, v32
	v_fma_f16 v84, v15, 0xbacd, -v58
	v_fmac_f16_e32 v58, 0xbacd, v15
	v_add_f16_e32 v33, v70, v33
	;; [unrolled: 3-line block ×4, first 2 shown]
	v_mul_f16_e32 v51, 0xb836, v6
	v_add_f16_e32 v37, v68, v37
	v_fma_f16 v68, v9, 0xbacd, -v60
	v_fmac_f16_e32 v60, 0xbacd, v9
	v_add_f16_e32 v29, v62, v29
	v_mul_f16_e32 v62, 0x3b29, v8
	v_add_f16_e32 v27, v27, v39
	v_add_f16_e32 v24, v79, v24
	v_pk_fma_f16 v41, 0xba62b8d2, v41, v90 neg_lo:[0,0,1] neg_hi:[0,0,1]
	v_pk_add_f16 v52, v52, v55
	v_add_f16_e32 v22, v72, v22
	v_add_f16_e32 v20, v21, v20
	v_pk_add_f16 v21, v63, v30
	v_pk_fma_f16 v30, 0x3b293722, v11, v10
	v_fmac_f16_e32 v57, 0xbbdd, v15
	v_add_f16_e32 v14, v67, v14
	v_fmamk_f16 v67, v7, 0xbacd, v51
	v_add_f16_e32 v40, v40, v54
	v_mul_f16_e32 v54, 0x3b29, v6
	v_fma_f16 v51, v7, 0xbacd, -v51
	v_add_f16_e32 v45, v74, v45
	v_fma_f16 v74, v9, 0x3722, -v62
	v_mul_f16_e32 v91, 0xbbf7, v6
	v_add_f16_e32 v31, v49, v31
	v_add_f16_e32 v48, v65, v48
	v_mul_f16_e32 v65, 0x3a62, v6
	v_mul_f16_e32 v55, 0xb5c8, v8
	v_pk_add_f16 v13, v41, v13
	v_mul_f16_e32 v41, 0xb5c8, v6
	v_add_f16_e32 v32, v82, v32
	v_mul_f16_e32 v72, 0xb1e1, v8
	v_add_f16_e32 v16, v73, v16
	;; [unrolled: 2-line block ×3, first 2 shown]
	v_add_f16_e32 v26, v76, v26
	v_mul_f16_e32 v76, 0x3964, v8
	v_add_f16_e32 v19, v89, v19
	v_mul_f16_e32 v89, 0x3964, v6
	;; [unrolled: 2-line block ×7, first 2 shown]
	v_pk_fma_f16 v10, 0x3b293722, v11, v10 neg_lo:[0,0,1] neg_hi:[0,0,1]
	v_pk_add_f16 v30, v30, v52
	v_mul_f16_e32 v52, 0x3b29, v5
	v_add_f16_e32 v22, v60, v22
	v_mul_f16_e32 v60, 0xbbb2, v5
	v_pack_b32_f16 v6, v6, v9
	v_mul_f16_e32 v39, 0xbbf7, v8
	v_mul_f16_e32 v79, 0x3a62, v8
	v_add_f16_e32 v23, v75, v23
	v_fmamk_f16 v75, v7, 0x3722, v54
	v_fma_f16 v54, v7, 0x3722, -v54
	v_fmamk_f16 v56, v7, 0x2de8, v91
	v_fma_f16 v91, v7, 0x2de8, -v91
	;; [unrolled: 2-line block ×3, first 2 shown]
	v_fma_f16 v82, v9, 0x3b76, -v55
	v_add_f16_e32 v38, v53, v38
	v_fmamk_f16 v53, v7, 0x3b76, v41
	v_fmac_f16_e32 v55, 0x3b76, v9
	v_fma_f16 v41, v7, 0x3b76, -v41
	v_fma_f16 v77, v9, 0xbbdd, -v72
	v_add_f16_e32 v43, v59, v43
	v_fmamk_f16 v59, v7, 0xbbdd, v73
	v_fmac_f16_e32 v72, 0xbbdd, v9
	v_fma_f16 v73, v7, 0xbbdd, -v73
	v_add_f16_e32 v34, v81, v34
	v_fma_f16 v81, v9, 0x39e9, -v76
	v_add_f16_e32 v47, v88, v47
	v_fmamk_f16 v88, v7, 0x39e9, v89
	v_add_f16_e32 v18, v80, v18
	v_mul_f16_e32 v80, 0xb1e1, v2
	v_fma_f16 v89, v7, 0x39e9, -v89
	v_add_f16_e32 v35, v84, v35
	v_fma_f16 v84, v1, 0xbbdd, -v85
	v_fmac_f16_e32 v85, 0xbbdd, v1
	v_add_f16_e32 v42, v42, v46
	v_mul_f16_e32 v46, 0x35c8, v2
	v_add_f16_e32 v37, v70, v37
	v_fma_f16 v70, v1, 0x3b76, -v58
	v_add_f16_e32 v14, v44, v14
	v_fmac_f16_e32 v58, 0x3b76, v1
	v_add_f16_e32 v40, v66, v40
	v_mul_f16_e32 v66, 0xb836, v2
	v_add_f16_e32 v45, v61, v45
	v_fma_f16 v61, v1, 0xbacd, -v83
	v_fmac_f16_e32 v83, 0xbacd, v1
	v_mul_f16_e32 v15, 0x3964, v2
	v_add_f16_e32 v31, v86, v31
	v_fma_f16 v86, v1, 0x39e9, -v71
	v_fmac_f16_e32 v71, 0x39e9, v1
	v_add_f16_e32 v48, v57, v48
	v_mul_f16_e32 v57, 0xba62, v2
	v_fma_f16 v63, v1, 0xb8d2, -v64
	v_fmac_f16_e32 v64, 0xb8d2, v1
	v_pk_add_f16 v10, v10, v13
	v_mul_f16_e32 v13, 0x3b29, v2
	v_add_f16_e32 v32, v68, v32
	v_fma_f16 v68, v1, 0x3722, -v52
	v_fmac_f16_e32 v52, 0x3722, v1
	v_add_f16_e32 v16, v51, v16
	v_mul_f16_e32 v51, 0xbbb2, v2
	v_add_f16_e32 v33, v74, v33
	v_fma_f16 v74, v1, 0xb461, -v60
	v_fmac_f16_e32 v60, 0xb461, v1
	v_pack_b32_f16 v7, v7, v8
	v_pk_mul_f16 v6, 0xb461bbb2, v6
	v_pack_b32_f16 v1, v2, v1
	v_fma_f16 v49, v9, 0x2de8, -v39
	v_fmac_f16_e32 v39, 0x2de8, v9
	v_fma_f16 v78, v9, 0xb8d2, -v79
	v_add_f16_e32 v50, v87, v50
	v_add_f16_e32 v23, v69, v23
	v_fmac_f16_e32 v62, 0x3722, v9
	v_fmac_f16_e32 v79, 0xb8d2, v9
	;; [unrolled: 1-line block ×3, first 2 shown]
	v_fmamk_f16 v87, v4, 0xbbdd, v80
	v_fma_f16 v80, v4, 0xbbdd, -v80
	v_fmamk_f16 v44, v4, 0x3b76, v46
	v_fma_f16 v46, v4, 0x3b76, -v46
	;; [unrolled: 2-line block ×5, first 2 shown]
	v_add_f16_e32 v38, v67, v38
	v_fmamk_f16 v67, v4, 0x3722, v13
	v_fma_f16 v13, v4, 0x3722, -v13
	v_add_f16_e32 v43, v75, v43
	v_fmamk_f16 v75, v4, 0xb461, v51
	v_fma_f16 v51, v4, 0xb461, -v51
	v_add_f16_e32 v14, v53, v14
	v_add_f16_e32 v29, v55, v29
	;; [unrolled: 1-line block ×6, first 2 shown]
	v_pk_fma_f16 v36, 0xbbb2b461, v7, v6 neg_lo:[0,1,0] neg_hi:[0,1,0]
	v_pk_fma_f16 v41, 0xbbb2b461, v7, v6
	v_pk_fma_f16 v6, 0xbbb2b461, v7, v6 neg_lo:[0,0,1] neg_hi:[0,0,1]
	v_pack_b32_f16 v4, v4, v5
	v_pk_mul_f16 v1, 0x2de83bf7, v1
	v_add_f16_e32 v24, v88, v24
	v_add_f16_e32 v34, v49, v34
	;; [unrolled: 1-line block ×11, first 2 shown]
	v_pk_add_f16 v21, v36, v21
	v_pk_add_f16 v30, v41, v30
	;; [unrolled: 1-line block ×3, first 2 shown]
	v_add_f16_e32 v11, v11, v14
	v_add_f16_e32 v14, v64, v29
	;; [unrolled: 1-line block ×4, first 2 shown]
	v_pk_fma_f16 v27, 0x3bf72de8, v4, v1 neg_lo:[0,1,0] neg_hi:[0,1,0]
	v_pk_fma_f16 v29, 0x3bf72de8, v4, v1
	v_pk_fma_f16 v1, 0x3bf72de8, v4, v1 neg_lo:[0,0,1] neg_hi:[0,0,1]
	v_add_f16_e32 v13, v74, v31
	v_add_f16_e32 v24, v75, v24
	;; [unrolled: 1-line block ×16, first 2 shown]
	v_pk_add_f16 v20, v27, v21
	v_pk_add_f16 v21, v29, v30
	;; [unrolled: 1-line block ×3, first 2 shown]
	v_pack_b32_f16 v13, v13, v24
	v_pack_b32_f16 v6, v33, v36
	;; [unrolled: 1-line block ×7, first 2 shown]
	v_add_f16_e32 v28, v79, v28
	v_add_f16_e32 v42, v65, v42
	v_alignbit_b32 v1, v1, v21, 16
	v_alignbit_b32 v20, v21, v20, 16
	v_add_f16_e32 v26, v62, v26
	v_add_f16_e32 v19, v54, v19
	;; [unrolled: 1-line block ×3, first 2 shown]
	ds_store_2addr_b32 v17, v3, v13 offset1:7
	ds_store_2addr_b32 v17, v10, v6 offset0:1 offset1:2
	ds_store_2addr_b32 v17, v27, v12 offset0:3 offset1:4
	;; [unrolled: 1-line block ×4, first 2 shown]
	v_mul_hi_u32 v3, 0x2222223, v0
	v_add_f16_e32 v28, v71, v28
	v_add_f16_e32 v15, v15, v42
	;; [unrolled: 1-line block ×8, first 2 shown]
	v_pack_b32_f16 v1, v5, v8
	v_pack_b32_f16 v4, v4, v7
	v_mul_u32_u24_e32 v9, 0x78, v3
	v_pack_b32_f16 v5, v28, v15
	v_pack_b32_f16 v2, v14, v2
	v_pack_b32_f16 v6, v26, v19
	v_pack_b32_f16 v7, v25, v18
	v_pack_b32_f16 v8, v22, v16
	ds_store_2addr_b32 v17, v4, v1 offset0:10 offset1:11
	ds_store_2addr_b32 v17, v2, v5 offset0:12 offset1:13
	;; [unrolled: 1-line block ×3, first 2 shown]
	ds_store_b32 v17, v8 offset:64
	v_sub_nc_u32_e32 v4, v0, v9
	global_wb scope:SCOPE_SE
	s_wait_dscnt 0x0
	s_barrier_signal -1
	s_barrier_wait -1
	global_inv scope:SCOPE_SE
	s_cbranch_vccnz .LBB0_10
; %bb.7:
	v_mad_co_u64_u32 v[6:7], null, s4, v4, 0
	v_mul_lo_u32 v1, v3, s2
	v_lshlrev_b32_e32 v10, 2, v3
	s_wait_alu 0xfffe
	s_lshl_b64 s[10:11], s[6:7], 2
	s_mov_b32 s3, exec_lo
	s_wait_alu 0xfffe
	s_add_nc_u64 s[10:11], s[0:1], s[10:11]
	v_dual_mov_b32 v2, 0 :: v_dual_mov_b32 v5, v7
	s_delay_alu instid0(VALU_DEP_1) | instskip(SKIP_1) | instid1(VALU_DEP_3)
	v_mad_co_u64_u32 v[7:8], null, s5, v4, v[5:6]
	v_mul_i32_i24_e32 v5, 0x48, v4
	v_lshlrev_b64_e32 v[8:9], 2, v[1:2]
	v_add_nc_u32_e32 v1, s2, v1
	s_delay_alu instid0(VALU_DEP_3) | instskip(SKIP_1) | instid1(VALU_DEP_3)
	v_add3_u32 v5, 0, v5, v10
	v_lshlrev_b64_e32 v[6:7], 2, v[6:7]
	v_lshlrev_b64_e32 v[10:11], 2, v[1:2]
	v_add_nc_u32_e32 v1, s2, v1
	ds_load_2addr_b32 v[12:13], v5 offset1:1
	ds_load_2addr_b32 v[14:15], v5 offset0:2 offset1:3
	ds_load_2addr_b32 v[22:23], v5 offset0:4 offset1:5
	;; [unrolled: 1-line block ×3, first 2 shown]
	s_wait_alu 0xfffe
	v_add_co_u32 v6, vcc_lo, s10, v6
	s_wait_alu 0xfffd
	v_add_co_ci_u32_e32 v7, vcc_lo, s11, v7, vcc_lo
	v_lshlrev_b64_e32 v[16:17], 2, v[1:2]
	v_add_nc_u32_e32 v1, s2, v1
	v_add_co_u32 v8, vcc_lo, v6, v8
	s_wait_alu 0xfffd
	v_add_co_ci_u32_e32 v9, vcc_lo, v7, v9, vcc_lo
	s_delay_alu instid0(VALU_DEP_3)
	v_lshlrev_b64_e32 v[18:19], 2, v[1:2]
	v_add_co_u32 v10, vcc_lo, v6, v10
	v_add_nc_u32_e32 v1, s2, v1
	s_wait_alu 0xfffd
	v_add_co_ci_u32_e32 v11, vcc_lo, v7, v11, vcc_lo
	v_add_co_u32 v16, vcc_lo, v6, v16
	s_wait_alu 0xfffd
	v_add_co_ci_u32_e32 v17, vcc_lo, v7, v17, vcc_lo
	v_lshlrev_b64_e32 v[20:21], 2, v[1:2]
	v_add_nc_u32_e32 v1, s2, v1
	v_add_co_u32 v18, vcc_lo, v6, v18
	s_wait_alu 0xfffd
	v_add_co_ci_u32_e32 v19, vcc_lo, v7, v19, vcc_lo
	s_wait_dscnt 0x3
	s_clause 0x1
	global_store_b32 v[8:9], v12, off
	global_store_b32 v[10:11], v13, off
	s_wait_dscnt 0x2
	s_clause 0x1
	global_store_b32 v[16:17], v14, off
	global_store_b32 v[18:19], v15, off
	v_lshlrev_b64_e32 v[8:9], 2, v[1:2]
	v_add_nc_u32_e32 v1, s2, v1
	v_add_co_u32 v10, vcc_lo, v6, v20
	ds_load_2addr_b32 v[16:17], v5 offset0:8 offset1:9
	s_wait_alu 0xfffd
	v_add_co_ci_u32_e32 v11, vcc_lo, v7, v21, vcc_lo
	v_lshlrev_b64_e32 v[12:13], 2, v[1:2]
	v_add_nc_u32_e32 v1, s2, v1
	v_add_co_u32 v8, vcc_lo, v6, v8
	s_wait_alu 0xfffd
	v_add_co_ci_u32_e32 v9, vcc_lo, v7, v9, vcc_lo
	s_delay_alu instid0(VALU_DEP_3)
	v_lshlrev_b64_e32 v[14:15], 2, v[1:2]
	v_add_nc_u32_e32 v1, s2, v1
	v_add_co_u32 v12, vcc_lo, v6, v12
	s_wait_alu 0xfffd
	v_add_co_ci_u32_e32 v13, vcc_lo, v7, v13, vcc_lo
	s_wait_dscnt 0x2
	global_store_b32 v[10:11], v22, off
	v_lshlrev_b64_e32 v[10:11], 2, v[1:2]
	v_add_co_u32 v14, vcc_lo, v6, v14
	s_wait_alu 0xfffd
	v_add_co_ci_u32_e32 v15, vcc_lo, v7, v15, vcc_lo
	v_add_nc_u32_e32 v1, s2, v1
	global_store_b32 v[8:9], v23, off
	s_wait_dscnt 0x1
	s_clause 0x1
	global_store_b32 v[12:13], v24, off
	global_store_b32 v[14:15], v25, off
	v_add_co_u32 v8, vcc_lo, v6, v10
	s_wait_alu 0xfffd
	v_add_co_ci_u32_e32 v9, vcc_lo, v7, v11, vcc_lo
	v_lshlrev_b64_e32 v[10:11], 2, v[1:2]
	v_add_nc_u32_e32 v1, s2, v1
	ds_load_2addr_b32 v[12:13], v5 offset0:10 offset1:11
	ds_load_2addr_b32 v[14:15], v5 offset0:12 offset1:13
	ds_load_2addr_b32 v[18:19], v5 offset0:14 offset1:15
	s_wait_dscnt 0x3
	global_store_b32 v[8:9], v16, off
	v_lshlrev_b64_e32 v[8:9], 2, v[1:2]
	v_add_nc_u32_e32 v1, s2, v1
	v_add_co_u32 v10, vcc_lo, v6, v10
	s_wait_alu 0xfffd
	v_add_co_ci_u32_e32 v11, vcc_lo, v7, v11, vcc_lo
	s_delay_alu instid0(VALU_DEP_3) | instskip(SKIP_4) | instid1(VALU_DEP_3)
	v_lshlrev_b64_e32 v[20:21], 2, v[1:2]
	v_add_nc_u32_e32 v1, s2, v1
	v_add_co_u32 v8, vcc_lo, v6, v8
	s_wait_alu 0xfffd
	v_add_co_ci_u32_e32 v9, vcc_lo, v7, v9, vcc_lo
	v_lshlrev_b64_e32 v[22:23], 2, v[1:2]
	v_add_nc_u32_e32 v1, s2, v1
	v_add_co_u32 v20, vcc_lo, v6, v20
	s_wait_alu 0xfffd
	v_add_co_ci_u32_e32 v21, vcc_lo, v7, v21, vcc_lo
	s_delay_alu instid0(VALU_DEP_3)
	v_lshlrev_b64_e32 v[24:25], 2, v[1:2]
	v_add_nc_u32_e32 v1, s2, v1
	v_add_co_u32 v22, vcc_lo, v6, v22
	s_wait_alu 0xfffd
	v_add_co_ci_u32_e32 v23, vcc_lo, v7, v23, vcc_lo
	global_store_b32 v[10:11], v17, off
	s_wait_dscnt 0x2
	s_clause 0x1
	global_store_b32 v[8:9], v12, off
	global_store_b32 v[20:21], v13, off
	s_wait_dscnt 0x1
	global_store_b32 v[22:23], v14, off
	v_lshlrev_b64_e32 v[8:9], 2, v[1:2]
	v_add_nc_u32_e32 v1, s2, v1
	ds_load_b32 v14, v5 offset:64
	v_add_co_u32 v10, vcc_lo, v6, v24
	s_wait_alu 0xfffd
	v_add_co_ci_u32_e32 v11, vcc_lo, v7, v25, vcc_lo
	v_lshlrev_b64_e32 v[12:13], 2, v[1:2]
	v_add_nc_u32_e32 v1, s2, v1
	v_add_co_u32 v8, vcc_lo, v6, v8
	s_wait_alu 0xfffd
	v_add_co_ci_u32_e32 v9, vcc_lo, v7, v9, vcc_lo
	s_delay_alu instid0(VALU_DEP_3) | instskip(SKIP_3) | instid1(VALU_DEP_3)
	v_lshlrev_b64_e32 v[16:17], 2, v[1:2]
	v_add_co_u32 v12, vcc_lo, v6, v12
	s_wait_alu 0xfffd
	v_add_co_ci_u32_e32 v13, vcc_lo, v7, v13, vcc_lo
	v_add_co_u32 v16, vcc_lo, v6, v16
	s_wait_alu 0xfffd
	v_add_co_ci_u32_e32 v17, vcc_lo, v7, v17, vcc_lo
	global_store_b32 v[10:11], v15, off
	s_wait_dscnt 0x1
	s_clause 0x1
	global_store_b32 v[8:9], v18, off
	global_store_b32 v[12:13], v19, off
	s_wait_dscnt 0x0
	global_store_b32 v[16:17], v14, off
	v_cmpx_gt_u32_e32 0x78, v0
	s_cbranch_execz .LBB0_9
; %bb.8:
	ds_load_b32 v5, v5 offset:68
	v_add_nc_u32_e32 v1, s2, v1
	s_delay_alu instid0(VALU_DEP_1) | instskip(NEXT) | instid1(VALU_DEP_1)
	v_lshlrev_b64_e32 v[1:2], 2, v[1:2]
	v_add_co_u32 v1, vcc_lo, v6, v1
	s_wait_alu 0xfffd
	s_delay_alu instid0(VALU_DEP_2)
	v_add_co_ci_u32_e32 v2, vcc_lo, v7, v2, vcc_lo
	s_wait_dscnt 0x0
	global_store_b32 v[1:2], v5, off
.LBB0_9:
	s_or_b32 exec_lo, exec_lo, s3
	s_mov_b32 s3, 0
.LBB0_10:
	s_wait_alu 0xfffe
	s_and_not1_b32 vcc_lo, exec_lo, s3
	s_wait_alu 0xfffe
	s_cbranch_vccnz .LBB0_14
; %bb.11:
	v_add_nc_u32_e32 v1, s8, v4
	s_mov_b32 s3, exec_lo
	s_delay_alu instid0(VALU_DEP_1)
	v_cmpx_gt_u32_e64 s12, v1
	s_cbranch_execz .LBB0_14
; %bb.12:
	v_mad_co_u64_u32 v[5:6], null, s4, v4, 0
	v_mul_lo_u32 v1, v3, s2
	v_mov_b32_e32 v2, 0
	s_delay_alu instid0(VALU_DEP_3) | instskip(SKIP_1) | instid1(VALU_DEP_3)
	v_mad_co_u64_u32 v[6:7], null, s5, v4, v[6:7]
	v_mad_i32_i24 v4, 0x48, v4, 0
	v_lshlrev_b64_e32 v[7:8], 2, v[1:2]
	v_add_nc_u32_e32 v1, s2, v1
	s_lshl_b64 s[4:5], s[6:7], 2
	s_delay_alu instid0(VALU_DEP_3) | instskip(SKIP_1) | instid1(VALU_DEP_3)
	v_lshl_add_u32 v25, v3, 2, v4
	v_lshlrev_b64_e32 v[5:6], 2, v[5:6]
	v_lshlrev_b64_e32 v[9:10], 2, v[1:2]
	v_add_nc_u32_e32 v1, s2, v1
	s_wait_alu 0xfffe
	s_add_nc_u64 s[0:1], s[0:1], s[4:5]
	ds_load_2addr_b32 v[11:12], v25 offset1:1
	ds_load_2addr_b32 v[13:14], v25 offset0:2 offset1:3
	ds_load_2addr_b32 v[21:22], v25 offset0:4 offset1:5
	ds_load_2addr_b32 v[23:24], v25 offset0:6 offset1:7
	v_add_co_u32 v3, vcc_lo, s0, v5
	s_wait_alu 0xfffd
	v_add_co_ci_u32_e32 v5, vcc_lo, s1, v6, vcc_lo
	v_lshlrev_b64_e32 v[15:16], 2, v[1:2]
	v_add_nc_u32_e32 v1, s2, v1
	v_add_co_u32 v6, vcc_lo, v3, v7
	s_wait_alu 0xfffd
	v_add_co_ci_u32_e32 v7, vcc_lo, v5, v8, vcc_lo
	s_delay_alu instid0(VALU_DEP_3)
	v_lshlrev_b64_e32 v[17:18], 2, v[1:2]
	v_add_co_u32 v8, vcc_lo, v3, v9
	v_add_nc_u32_e32 v1, s2, v1
	s_wait_alu 0xfffd
	v_add_co_ci_u32_e32 v9, vcc_lo, v5, v10, vcc_lo
	v_add_co_u32 v15, vcc_lo, v3, v15
	s_wait_alu 0xfffd
	v_add_co_ci_u32_e32 v16, vcc_lo, v5, v16, vcc_lo
	v_lshlrev_b64_e32 v[19:20], 2, v[1:2]
	v_add_nc_u32_e32 v1, s2, v1
	v_add_co_u32 v17, vcc_lo, v3, v17
	s_wait_alu 0xfffd
	v_add_co_ci_u32_e32 v18, vcc_lo, v5, v18, vcc_lo
	s_wait_dscnt 0x3
	s_clause 0x1
	global_store_b32 v[6:7], v11, off
	global_store_b32 v[8:9], v12, off
	s_wait_dscnt 0x2
	s_clause 0x1
	global_store_b32 v[15:16], v13, off
	global_store_b32 v[17:18], v14, off
	v_lshlrev_b64_e32 v[6:7], 2, v[1:2]
	v_add_nc_u32_e32 v1, s2, v1
	v_add_co_u32 v8, vcc_lo, v3, v19
	ds_load_2addr_b32 v[14:15], v25 offset0:8 offset1:9
	s_wait_alu 0xfffd
	v_add_co_ci_u32_e32 v9, vcc_lo, v5, v20, vcc_lo
	v_lshlrev_b64_e32 v[10:11], 2, v[1:2]
	v_add_nc_u32_e32 v1, s2, v1
	v_add_co_u32 v6, vcc_lo, v3, v6
	s_wait_alu 0xfffd
	v_add_co_ci_u32_e32 v7, vcc_lo, v5, v7, vcc_lo
	s_delay_alu instid0(VALU_DEP_3)
	v_lshlrev_b64_e32 v[12:13], 2, v[1:2]
	v_add_nc_u32_e32 v1, s2, v1
	v_add_co_u32 v10, vcc_lo, v3, v10
	s_wait_alu 0xfffd
	v_add_co_ci_u32_e32 v11, vcc_lo, v5, v11, vcc_lo
	s_wait_dscnt 0x2
	global_store_b32 v[8:9], v21, off
	v_lshlrev_b64_e32 v[8:9], 2, v[1:2]
	v_add_co_u32 v12, vcc_lo, v3, v12
	s_wait_alu 0xfffd
	v_add_co_ci_u32_e32 v13, vcc_lo, v5, v13, vcc_lo
	v_add_nc_u32_e32 v1, s2, v1
	global_store_b32 v[6:7], v22, off
	s_wait_dscnt 0x1
	s_clause 0x1
	global_store_b32 v[10:11], v23, off
	global_store_b32 v[12:13], v24, off
	v_add_co_u32 v6, vcc_lo, v3, v8
	s_wait_alu 0xfffd
	v_add_co_ci_u32_e32 v7, vcc_lo, v5, v9, vcc_lo
	v_lshlrev_b64_e32 v[8:9], 2, v[1:2]
	v_add_nc_u32_e32 v1, s2, v1
	ds_load_2addr_b32 v[10:11], v25 offset0:10 offset1:11
	ds_load_2addr_b32 v[12:13], v25 offset0:12 offset1:13
	;; [unrolled: 1-line block ×3, first 2 shown]
	s_wait_dscnt 0x3
	global_store_b32 v[6:7], v14, off
	s_mul_hi_u32 s0, s12, 0x88888889
	v_lshlrev_b64_e32 v[6:7], 2, v[1:2]
	v_add_nc_u32_e32 v1, s2, v1
	v_add_co_u32 v8, vcc_lo, v3, v8
	s_wait_alu 0xfffd
	v_add_co_ci_u32_e32 v9, vcc_lo, v5, v9, vcc_lo
	s_delay_alu instid0(VALU_DEP_3) | instskip(SKIP_4) | instid1(VALU_DEP_3)
	v_lshlrev_b64_e32 v[18:19], 2, v[1:2]
	v_add_nc_u32_e32 v1, s2, v1
	v_add_co_u32 v6, vcc_lo, v3, v6
	s_wait_alu 0xfffd
	v_add_co_ci_u32_e32 v7, vcc_lo, v5, v7, vcc_lo
	v_lshlrev_b64_e32 v[20:21], 2, v[1:2]
	v_add_nc_u32_e32 v1, s2, v1
	v_add_co_u32 v18, vcc_lo, v3, v18
	s_wait_alu 0xfffd
	v_add_co_ci_u32_e32 v19, vcc_lo, v5, v19, vcc_lo
	s_delay_alu instid0(VALU_DEP_3)
	v_lshlrev_b64_e32 v[22:23], 2, v[1:2]
	v_add_nc_u32_e32 v1, s2, v1
	v_add_co_u32 v20, vcc_lo, v3, v20
	s_wait_alu 0xfffd
	v_add_co_ci_u32_e32 v21, vcc_lo, v5, v21, vcc_lo
	global_store_b32 v[8:9], v15, off
	s_wait_dscnt 0x2
	s_clause 0x1
	global_store_b32 v[6:7], v10, off
	global_store_b32 v[18:19], v11, off
	s_wait_dscnt 0x1
	global_store_b32 v[20:21], v12, off
	v_lshlrev_b64_e32 v[6:7], 2, v[1:2]
	v_add_nc_u32_e32 v1, s2, v1
	v_add_co_u32 v8, vcc_lo, v3, v22
	ds_load_b32 v12, v25 offset:64
	s_wait_alu 0xfffd
	v_add_co_ci_u32_e32 v9, vcc_lo, v5, v23, vcc_lo
	v_lshlrev_b64_e32 v[10:11], 2, v[1:2]
	v_add_nc_u32_e32 v1, s2, v1
	v_add_co_u32 v6, vcc_lo, v3, v6
	s_wait_alu 0xfffd
	v_add_co_ci_u32_e32 v7, vcc_lo, v5, v7, vcc_lo
	s_delay_alu instid0(VALU_DEP_3)
	v_lshlrev_b64_e32 v[14:15], 2, v[1:2]
	s_wait_alu 0xfffe
	s_lshr_b32 s0, s0, 6
	v_add_co_u32 v10, vcc_lo, v3, v10
	s_wait_alu 0xfffe
	s_mulk_i32 s0, 0x78
	s_wait_alu 0xfffd
	v_add_co_ci_u32_e32 v11, vcc_lo, v5, v11, vcc_lo
	v_add_co_u32 v14, vcc_lo, v3, v14
	s_wait_alu 0xfffe
	s_sub_co_i32 s0, s12, s0
	s_wait_alu 0xfffd
	v_add_co_ci_u32_e32 v15, vcc_lo, v5, v15, vcc_lo
	s_wait_alu 0xfffe
	v_cmp_gt_u32_e32 vcc_lo, s0, v0
	global_store_b32 v[8:9], v13, off
	s_wait_dscnt 0x1
	s_clause 0x1
	global_store_b32 v[6:7], v16, off
	global_store_b32 v[10:11], v17, off
	s_wait_dscnt 0x0
	global_store_b32 v[14:15], v12, off
	s_and_b32 exec_lo, exec_lo, vcc_lo
	s_cbranch_execz .LBB0_14
; %bb.13:
	ds_load_b32 v4, v4 offset:68
	v_add_nc_u32_e32 v1, s2, v1
	s_delay_alu instid0(VALU_DEP_1) | instskip(NEXT) | instid1(VALU_DEP_1)
	v_lshlrev_b64_e32 v[0:1], 2, v[1:2]
	v_add_co_u32 v0, vcc_lo, v3, v0
	s_wait_alu 0xfffd
	s_delay_alu instid0(VALU_DEP_2)
	v_add_co_ci_u32_e32 v1, vcc_lo, v5, v1, vcc_lo
	s_wait_dscnt 0x0
	global_store_b32 v[0:1], v4, off
.LBB0_14:
	s_nop 0
	s_sendmsg sendmsg(MSG_DEALLOC_VGPRS)
	s_endpgm
	.section	.rodata,"a",@progbits
	.p2align	6, 0x0
	.amdhsa_kernel fft_rtc_fwd_len17_factors_17_wgs_120_tpt_1_half_op_CI_CI_sbrc_erc_z_xy_unaligned
		.amdhsa_group_segment_fixed_size 0
		.amdhsa_private_segment_fixed_size 0
		.amdhsa_kernarg_size 104
		.amdhsa_user_sgpr_count 2
		.amdhsa_user_sgpr_dispatch_ptr 0
		.amdhsa_user_sgpr_queue_ptr 0
		.amdhsa_user_sgpr_kernarg_segment_ptr 1
		.amdhsa_user_sgpr_dispatch_id 0
		.amdhsa_user_sgpr_private_segment_size 0
		.amdhsa_wavefront_size32 1
		.amdhsa_uses_dynamic_stack 0
		.amdhsa_enable_private_segment 0
		.amdhsa_system_sgpr_workgroup_id_x 1
		.amdhsa_system_sgpr_workgroup_id_y 0
		.amdhsa_system_sgpr_workgroup_id_z 0
		.amdhsa_system_sgpr_workgroup_info 0
		.amdhsa_system_vgpr_workitem_id 0
		.amdhsa_next_free_vgpr 97
		.amdhsa_next_free_sgpr 28
		.amdhsa_reserve_vcc 1
		.amdhsa_float_round_mode_32 0
		.amdhsa_float_round_mode_16_64 0
		.amdhsa_float_denorm_mode_32 3
		.amdhsa_float_denorm_mode_16_64 3
		.amdhsa_fp16_overflow 0
		.amdhsa_workgroup_processor_mode 1
		.amdhsa_memory_ordered 1
		.amdhsa_forward_progress 0
		.amdhsa_round_robin_scheduling 0
		.amdhsa_exception_fp_ieee_invalid_op 0
		.amdhsa_exception_fp_denorm_src 0
		.amdhsa_exception_fp_ieee_div_zero 0
		.amdhsa_exception_fp_ieee_overflow 0
		.amdhsa_exception_fp_ieee_underflow 0
		.amdhsa_exception_fp_ieee_inexact 0
		.amdhsa_exception_int_div_zero 0
	.end_amdhsa_kernel
	.text
.Lfunc_end0:
	.size	fft_rtc_fwd_len17_factors_17_wgs_120_tpt_1_half_op_CI_CI_sbrc_erc_z_xy_unaligned, .Lfunc_end0-fft_rtc_fwd_len17_factors_17_wgs_120_tpt_1_half_op_CI_CI_sbrc_erc_z_xy_unaligned
                                        ; -- End function
	.section	.AMDGPU.csdata,"",@progbits
; Kernel info:
; codeLenInByte = 11384
; NumSgprs: 30
; NumVgprs: 97
; ScratchSize: 0
; MemoryBound: 0
; FloatMode: 240
; IeeeMode: 1
; LDSByteSize: 0 bytes/workgroup (compile time only)
; SGPRBlocks: 3
; VGPRBlocks: 12
; NumSGPRsForWavesPerEU: 30
; NumVGPRsForWavesPerEU: 97
; Occupancy: 12
; WaveLimiterHint : 1
; COMPUTE_PGM_RSRC2:SCRATCH_EN: 0
; COMPUTE_PGM_RSRC2:USER_SGPR: 2
; COMPUTE_PGM_RSRC2:TRAP_HANDLER: 0
; COMPUTE_PGM_RSRC2:TGID_X_EN: 1
; COMPUTE_PGM_RSRC2:TGID_Y_EN: 0
; COMPUTE_PGM_RSRC2:TGID_Z_EN: 0
; COMPUTE_PGM_RSRC2:TIDIG_COMP_CNT: 0
	.text
	.p2alignl 7, 3214868480
	.fill 96, 4, 3214868480
	.type	__hip_cuid_c7b24b71821ab4ff,@object ; @__hip_cuid_c7b24b71821ab4ff
	.section	.bss,"aw",@nobits
	.globl	__hip_cuid_c7b24b71821ab4ff
__hip_cuid_c7b24b71821ab4ff:
	.byte	0                               ; 0x0
	.size	__hip_cuid_c7b24b71821ab4ff, 1

	.ident	"AMD clang version 19.0.0git (https://github.com/RadeonOpenCompute/llvm-project roc-6.4.0 25133 c7fe45cf4b819c5991fe208aaa96edf142730f1d)"
	.section	".note.GNU-stack","",@progbits
	.addrsig
	.addrsig_sym __hip_cuid_c7b24b71821ab4ff
	.amdgpu_metadata
---
amdhsa.kernels:
  - .args:
      - .actual_access:  read_only
        .address_space:  global
        .offset:         0
        .size:           8
        .value_kind:     global_buffer
      - .offset:         8
        .size:           8
        .value_kind:     by_value
      - .actual_access:  read_only
        .address_space:  global
        .offset:         16
        .size:           8
        .value_kind:     global_buffer
      - .actual_access:  read_only
        .address_space:  global
        .offset:         24
        .size:           8
        .value_kind:     global_buffer
      - .actual_access:  read_only
        .address_space:  global
        .offset:         32
        .size:           8
        .value_kind:     global_buffer
      - .offset:         40
        .size:           8
        .value_kind:     by_value
      - .actual_access:  read_only
        .address_space:  global
        .offset:         48
        .size:           8
        .value_kind:     global_buffer
      - .actual_access:  read_only
        .address_space:  global
        .offset:         56
        .size:           8
        .value_kind:     global_buffer
      - .offset:         64
        .size:           4
        .value_kind:     by_value
      - .actual_access:  read_only
        .address_space:  global
        .offset:         72
        .size:           8
        .value_kind:     global_buffer
      - .actual_access:  read_only
        .address_space:  global
        .offset:         80
        .size:           8
        .value_kind:     global_buffer
      - .actual_access:  read_only
        .address_space:  global
        .offset:         88
        .size:           8
        .value_kind:     global_buffer
      - .actual_access:  write_only
        .address_space:  global
        .offset:         96
        .size:           8
        .value_kind:     global_buffer
    .group_segment_fixed_size: 0
    .kernarg_segment_align: 8
    .kernarg_segment_size: 104
    .language:       OpenCL C
    .language_version:
      - 2
      - 0
    .max_flat_workgroup_size: 120
    .name:           fft_rtc_fwd_len17_factors_17_wgs_120_tpt_1_half_op_CI_CI_sbrc_erc_z_xy_unaligned
    .private_segment_fixed_size: 0
    .sgpr_count:     30
    .sgpr_spill_count: 0
    .symbol:         fft_rtc_fwd_len17_factors_17_wgs_120_tpt_1_half_op_CI_CI_sbrc_erc_z_xy_unaligned.kd
    .uniform_work_group_size: 1
    .uses_dynamic_stack: false
    .vgpr_count:     97
    .vgpr_spill_count: 0
    .wavefront_size: 32
    .workgroup_processor_mode: 1
amdhsa.target:   amdgcn-amd-amdhsa--gfx1201
amdhsa.version:
  - 1
  - 2
...

	.end_amdgpu_metadata
